;; amdgpu-corpus repo=ROCm/rocFFT kind=compiled arch=gfx1100 opt=O3
	.text
	.amdgcn_target "amdgcn-amd-amdhsa--gfx1100"
	.amdhsa_code_object_version 6
	.protected	bluestein_single_back_len715_dim1_dp_op_CI_CI ; -- Begin function bluestein_single_back_len715_dim1_dp_op_CI_CI
	.globl	bluestein_single_back_len715_dim1_dp_op_CI_CI
	.p2align	8
	.type	bluestein_single_back_len715_dim1_dp_op_CI_CI,@function
bluestein_single_back_len715_dim1_dp_op_CI_CI: ; @bluestein_single_back_len715_dim1_dp_op_CI_CI
; %bb.0:
	s_load_b128 s[4:7], s[0:1], 0x28
	v_mul_u32_u24_e32 v1, 0x3f1, v0
	s_mov_b32 s2, exec_lo
	s_delay_alu instid0(VALU_DEP_1) | instskip(NEXT) | instid1(VALU_DEP_1)
	v_lshrrev_b32_e32 v1, 16, v1
	v_mad_u64_u32 v[3:4], null, s15, 3, v[1:2]
	v_mov_b32_e32 v4, 0
                                        ; kill: def $vgpr2 killed $sgpr0 killed $exec
	s_waitcnt lgkmcnt(0)
	s_delay_alu instid0(VALU_DEP_1)
	v_cmpx_gt_u64_e64 s[4:5], v[3:4]
	s_cbranch_execz .LBB0_23
; %bb.1:
	v_mul_hi_u32 v2, 0xaaaaaaab, v3
	v_mul_lo_u16 v1, 0x41, v1
	s_clause 0x1
	s_load_b64 s[14:15], s[0:1], 0x0
	s_load_b64 s[12:13], s[0:1], 0x38
	s_delay_alu instid0(VALU_DEP_1) | instskip(SKIP_1) | instid1(VALU_DEP_4)
	v_sub_nc_u16 v0, v0, v1
	v_mov_b32_e32 v1, v3
	v_lshrrev_b32_e32 v2, 1, v2
	s_delay_alu instid0(VALU_DEP_3) | instskip(NEXT) | instid1(VALU_DEP_2)
	v_cmp_gt_u16_e32 vcc_lo, 55, v0
	v_lshl_add_u32 v2, v2, 1, v2
	scratch_store_b64 off, v[1:2], off offset:44 ; 8-byte Folded Spill
	v_sub_nc_u32_e32 v1, v3, v2
	v_and_b32_e32 v2, 0xffff, v0
	s_delay_alu instid0(VALU_DEP_2) | instskip(NEXT) | instid1(VALU_DEP_2)
	v_mul_u32_u24_e32 v185, 0x2cb, v1
	v_lshlrev_b32_e32 v0, 4, v2
	s_clause 0x1
	scratch_store_b32 off, v2, off
	scratch_store_b32 off, v0, off offset:4
	v_lshlrev_b32_e32 v0, 4, v185
	scratch_store_b32 off, v0, off offset:8 ; 4-byte Folded Spill
	s_and_saveexec_b32 s3, vcc_lo
	s_cbranch_execz .LBB0_3
; %bb.2:
	s_clause 0x2
	scratch_load_b64 v[0:1], off, off offset:44
	scratch_load_b32 v133, off, off offset:4
	scratch_load_b32 v132, off, off
	s_load_b64 s[4:5], s[0:1], 0x18
	s_waitcnt lgkmcnt(0)
	s_load_b128 s[8:11], s[4:5], 0x0
	s_waitcnt lgkmcnt(0)
	s_mul_i32 s4, s9, 0x370
	s_mul_hi_u32 s5, s8, 0x370
	s_delay_alu instid0(SALU_CYCLE_1)
	s_add_i32 s5, s5, s4
	s_waitcnt vmcnt(2)
	v_mov_b32_e32 v17, v0
	s_waitcnt vmcnt(1)
	v_add_co_u32 v25, s2, s14, v133
	s_waitcnt vmcnt(0)
	v_mad_u64_u32 v[28:29], null, s8, v132, 0
	v_mad_u64_u32 v[20:21], null, s10, v17, 0
	v_add_co_ci_u32_e64 v26, null, s15, 0, s2
	v_add_co_u32 v36, s2, 0x1000, v25
	s_clause 0x1
	global_load_b128 v[0:3], v133, s[14:15]
	global_load_b128 v[4:7], v133, s[14:15] offset:880
	v_add_co_ci_u32_e64 v37, s2, 0, v26, s2
	v_mov_b32_e32 v16, v21
	v_mov_b32_e32 v21, v29
	v_add_co_u32 v96, s2, 0x2000, v25
	s_delay_alu instid0(VALU_DEP_1) | instskip(NEXT) | instid1(VALU_DEP_4)
	v_add_co_ci_u32_e64 v97, s2, 0, v26, s2
	v_mad_u64_u32 v[22:23], null, s11, v17, v[16:17]
	s_clause 0x2
	global_load_b128 v[8:11], v133, s[14:15] offset:1760
	global_load_b128 v[12:15], v133, s[14:15] offset:2640
	;; [unrolled: 1-line block ×3, first 2 shown]
	v_mad_u64_u32 v[23:24], null, s9, v132, v[21:22]
	v_mov_b32_e32 v21, v22
	s_delay_alu instid0(VALU_DEP_1) | instskip(NEXT) | instid1(VALU_DEP_3)
	v_lshlrev_b64 v[30:31], 4, v[20:21]
	v_mov_b32_e32 v29, v23
	s_clause 0x1
	global_load_b128 v[20:23], v[36:37], off offset:304
	global_load_b128 v[24:27], v[36:37], off offset:1184
	v_add_co_u32 v30, s2, s6, v30
	v_lshlrev_b64 v[28:29], 4, v[28:29]
	v_add_co_ci_u32_e64 v31, s2, s7, v31, s2
	s_mul_i32 s6, s8, 0x370
	s_delay_alu instid0(VALU_DEP_2) | instskip(NEXT) | instid1(VALU_DEP_1)
	v_add_co_u32 v40, s2, v30, v28
	v_add_co_ci_u32_e64 v41, s2, v31, v29, s2
	s_clause 0x1
	global_load_b128 v[28:31], v[36:37], off offset:2064
	global_load_b128 v[32:35], v[36:37], off offset:2944
	v_add_co_u32 v44, s2, v40, s6
	s_delay_alu instid0(VALU_DEP_1) | instskip(SKIP_2) | instid1(VALU_DEP_1)
	v_add_co_ci_u32_e64 v45, s2, s5, v41, s2
	global_load_b128 v[36:39], v[36:37], off offset:3824
	v_add_co_u32 v48, s2, v44, s6
	v_add_co_ci_u32_e64 v49, s2, s5, v45, s2
	s_clause 0x1
	global_load_b128 v[40:43], v[40:41], off
	global_load_b128 v[44:47], v[44:45], off
	v_add_co_u32 v52, s2, v48, s6
	s_delay_alu instid0(VALU_DEP_1) | instskip(NEXT) | instid1(VALU_DEP_2)
	v_add_co_ci_u32_e64 v53, s2, s5, v49, s2
	v_add_co_u32 v56, s2, v52, s6
	s_delay_alu instid0(VALU_DEP_1) | instskip(SKIP_4) | instid1(VALU_DEP_1)
	v_add_co_ci_u32_e64 v57, s2, s5, v53, s2
	s_clause 0x1
	global_load_b128 v[48:51], v[48:49], off
	global_load_b128 v[52:55], v[52:53], off
	v_add_co_u32 v60, s2, v56, s6
	v_add_co_ci_u32_e64 v61, s2, s5, v57, s2
	global_load_b128 v[56:59], v[56:57], off
	v_add_co_u32 v64, s2, v60, s6
	s_delay_alu instid0(VALU_DEP_1) | instskip(SKIP_2) | instid1(VALU_DEP_1)
	v_add_co_ci_u32_e64 v65, s2, s5, v61, s2
	global_load_b128 v[60:63], v[60:61], off
	v_add_co_u32 v68, s2, v64, s6
	v_add_co_ci_u32_e64 v69, s2, s5, v65, s2
	global_load_b128 v[64:67], v[64:65], off
	v_add_co_u32 v72, s2, v68, s6
	s_delay_alu instid0(VALU_DEP_1) | instskip(SKIP_2) | instid1(VALU_DEP_1)
	v_add_co_ci_u32_e64 v73, s2, s5, v69, s2
	;; [unrolled: 7-line block ×3, first 2 shown]
	global_load_b128 v[76:79], v[76:77], off
	v_add_co_u32 v92, s2, v80, s6
	v_add_co_ci_u32_e64 v93, s2, s5, v81, s2
	global_load_b128 v[80:83], v[80:81], off
	v_add_co_u32 v100, s2, v92, s6
	s_delay_alu instid0(VALU_DEP_1)
	v_add_co_ci_u32_e64 v101, s2, s5, v93, s2
	s_clause 0x1
	global_load_b128 v[84:87], v[96:97], off offset:608
	global_load_b128 v[88:91], v[96:97], off offset:1488
	global_load_b128 v[92:95], v[92:93], off
	global_load_b128 v[96:99], v[96:97], off offset:2368
	global_load_b128 v[100:103], v[100:101], off
	s_waitcnt vmcnt(15)
	v_mul_f64 v[104:105], v[42:43], v[2:3]
	v_mul_f64 v[2:3], v[40:41], v[2:3]
	s_waitcnt vmcnt(14)
	v_mul_f64 v[106:107], v[46:47], v[6:7]
	v_mul_f64 v[6:7], v[44:45], v[6:7]
	;; [unrolled: 3-line block ×10, first 2 shown]
	v_fma_f64 v[38:39], v[40:41], v[0:1], v[104:105]
	v_fma_f64 v[40:41], v[42:43], v[0:1], -v[2:3]
	v_fma_f64 v[0:1], v[44:45], v[4:5], v[106:107]
	v_fma_f64 v[2:3], v[46:47], v[4:5], -v[6:7]
	s_waitcnt vmcnt(4)
	v_mul_f64 v[126:127], v[82:83], v[86:87]
	v_mul_f64 v[86:87], v[80:81], v[86:87]
	s_waitcnt vmcnt(2)
	v_mul_f64 v[128:129], v[94:95], v[90:91]
	v_mul_f64 v[90:91], v[92:93], v[90:91]
	;; [unrolled: 3-line block ×3, first 2 shown]
	v_fma_f64 v[4:5], v[48:49], v[8:9], v[108:109]
	v_fma_f64 v[6:7], v[50:51], v[8:9], -v[10:11]
	v_fma_f64 v[8:9], v[52:53], v[12:13], v[110:111]
	v_fma_f64 v[10:11], v[54:55], v[12:13], -v[14:15]
	;; [unrolled: 2-line block ×8, first 2 shown]
	v_lshlrev_b32_e32 v37, 4, v185
	v_fma_f64 v[42:43], v[80:81], v[84:85], v[126:127]
	v_fma_f64 v[44:45], v[82:83], v[84:85], -v[86:87]
	v_fma_f64 v[46:47], v[92:93], v[88:89], v[128:129]
	v_fma_f64 v[48:49], v[94:95], v[88:89], -v[90:91]
	v_fma_f64 v[50:51], v[100:101], v[96:97], v[130:131]
	v_fma_f64 v[52:53], v[102:103], v[96:97], -v[98:99]
	v_lshl_add_u32 v36, v132, 4, v37
	v_add_nc_u32_e32 v37, v37, v133
	ds_store_b128 v36, v[38:41]
	ds_store_b128 v37, v[0:3] offset:880
	ds_store_b128 v37, v[4:7] offset:1760
	;; [unrolled: 1-line block ×12, first 2 shown]
.LBB0_3:
	s_or_b32 exec_lo, exec_lo, s3
	s_waitcnt lgkmcnt(0)
	s_waitcnt_vscnt null, 0x0
	s_barrier
	buffer_gl0_inv
                                        ; implicit-def: $vgpr16_vgpr17
                                        ; implicit-def: $vgpr32_vgpr33
                                        ; implicit-def: $vgpr36_vgpr37
                                        ; implicit-def: $vgpr44_vgpr45
                                        ; implicit-def: $vgpr60_vgpr61
                                        ; implicit-def: $vgpr40_vgpr41
                                        ; implicit-def: $vgpr28_vgpr29
                                        ; implicit-def: $vgpr24_vgpr25
                                        ; implicit-def: $vgpr20_vgpr21
                                        ; implicit-def: $vgpr12_vgpr13
                                        ; implicit-def: $vgpr8_vgpr9
                                        ; implicit-def: $vgpr4_vgpr5
                                        ; implicit-def: $vgpr0_vgpr1
	s_and_saveexec_b32 s2, vcc_lo
	s_cbranch_execz .LBB0_5
; %bb.4:
	scratch_load_b32 v0, off, off offset:4  ; 4-byte Folded Reload
	s_waitcnt vmcnt(0)
	v_lshl_add_u32 v0, v185, 4, v0
	ds_load_b128 v[16:19], v0
	ds_load_b128 v[32:35], v0 offset:880
	ds_load_b128 v[36:39], v0 offset:1760
	;; [unrolled: 1-line block ×12, first 2 shown]
.LBB0_5:
	s_or_b32 exec_lo, exec_lo, s2
	s_waitcnt lgkmcnt(0)
	v_add_f64 v[173:174], v[34:35], -v[2:3]
	s_mov_b32 s6, 0x4267c47c
	s_mov_b32 s16, 0x66966769
	;; [unrolled: 1-line block ×4, first 2 shown]
	v_add_f64 v[96:97], v[32:33], -v[0:1]
	v_add_f64 v[94:95], v[32:33], v[0:1]
	v_add_f64 v[154:155], v[38:39], -v[6:7]
	s_mov_b32 s10, 0x42a4c3d2
	s_mov_b32 s20, 0xe00740e9
	;; [unrolled: 1-line block ×8, first 2 shown]
	v_add_f64 v[171:172], v[34:35], v[2:3]
	v_add_f64 v[64:65], v[36:37], -v[4:5]
	v_add_f64 v[68:69], v[36:37], v[4:5]
	v_add_f64 v[181:182], v[46:47], -v[10:11]
	s_mov_b32 s8, 0x1ea71119
	s_mov_b32 s22, 0x2ef20147
	;; [unrolled: 1-line block ×8, first 2 shown]
	v_add_f64 v[175:176], v[38:39], v[6:7]
	v_add_f64 v[102:103], v[44:45], -v[8:9]
	v_add_f64 v[132:133], v[44:45], v[8:9]
	v_add_f64 v[82:83], v[62:63], -v[14:15]
	s_mov_b32 s24, 0xb2365da1
	s_mov_b32 s25, 0xbfd6b1d8
	;; [unrolled: 1-line block ×4, first 2 shown]
	v_add_f64 v[183:184], v[46:47], v[10:11]
	v_add_f64 v[70:71], v[60:61], v[12:13]
	v_mul_f64 v[156:157], v[173:174], s[6:7]
	v_mul_f64 v[167:168], v[173:174], s[16:17]
	;; [unrolled: 1-line block ×3, first 2 shown]
	v_add_f64 v[146:147], v[42:43], -v[22:23]
	s_mov_b32 s38, 0x24c2f84
	v_mul_f64 v[158:159], v[96:97], s[6:7]
	v_mul_f64 v[165:166], v[96:97], s[10:11]
	;; [unrolled: 1-line block ×5, first 2 shown]
	s_mov_b32 s39, 0x3fe5384d
	s_mov_b32 s43, 0xbfe5384d
	;; [unrolled: 1-line block ×3, first 2 shown]
	v_add_f64 v[177:178], v[30:31], -v[26:27]
	s_mov_b32 s40, 0xd0032e0c
	s_mov_b32 s41, 0xbfe7f3cc
	s_clause 0x1
	s_load_b64 s[4:5], s[0:1], 0x20
	s_load_b64 s[2:3], s[0:1], 0x8
	v_mul_f64 v[76:77], v[64:65], s[10:11]
	v_mul_f64 v[88:89], v[64:65], s[22:23]
	;; [unrolled: 1-line block ×6, first 2 shown]
	v_add_f64 v[66:67], v[60:61], -v[12:13]
	v_mul_f64 v[122:123], v[181:182], s[28:29]
	v_add_f64 v[150:151], v[62:63], v[14:15]
	v_add_f64 v[72:73], v[40:41], -v[20:21]
	s_mov_b32 s37, 0x3fefc445
	s_mov_b32 s36, s16
	v_mul_f64 v[116:117], v[102:103], s[16:17]
	v_mul_f64 v[142:143], v[102:103], s[28:29]
	;; [unrolled: 1-line block ×6, first 2 shown]
	v_add_f64 v[161:162], v[42:43], v[22:23]
	v_fma_f64 v[48:49], v[94:95], s[20:21], v[156:157]
	v_fma_f64 v[56:57], v[94:95], s[18:19], v[167:168]
	;; [unrolled: 1-line block ×3, first 2 shown]
	v_mul_f64 v[128:129], v[146:147], s[42:43]
	v_mul_f64 v[140:141], v[146:147], s[10:11]
	v_fma_f64 v[50:51], v[171:172], s[20:21], -v[158:159]
	v_fma_f64 v[54:55], v[171:172], s[8:9], -v[165:166]
	v_fma_f64 v[78:79], v[68:69], s[8:9], v[74:75]
	v_fma_f64 v[100:101], v[68:69], s[30:31], v[84:85]
	;; [unrolled: 1-line block ×3, first 2 shown]
	v_mul_f64 v[136:137], v[146:147], s[36:37]
	v_fma_f64 v[80:81], v[175:176], s[8:9], -v[76:77]
	v_fma_f64 v[92:93], v[175:176], s[24:25], -v[88:89]
	v_fma_f64 v[112:113], v[132:133], s[18:19], v[106:107]
	v_fma_f64 v[186:187], v[132:133], s[24:25], v[148:149]
	v_fma_f64 v[58:59], v[171:172], s[18:19], -v[169:170]
	v_fma_f64 v[108:109], v[175:176], s[30:31], -v[98:99]
	v_mul_f64 v[110:111], v[66:67], s[22:23]
	v_mul_f64 v[118:119], v[66:67], s[38:39]
	;; [unrolled: 1-line block ×3, first 2 shown]
	v_fma_f64 v[130:131], v[132:133], s[30:31], v[122:123]
	v_mul_f64 v[134:135], v[72:73], s[42:43]
	v_mul_f64 v[138:139], v[72:73], s[36:37]
	v_fma_f64 v[124:125], v[183:184], s[18:19], -v[116:117]
	v_fma_f64 v[179:180], v[183:184], s[30:31], -v[142:143]
	v_fma_f64 v[190:191], v[70:71], s[24:25], v[104:105]
	v_fma_f64 v[198:199], v[70:71], s[20:21], v[120:121]
	v_fma_f64 v[188:189], v[183:184], s[24:25], -v[152:153]
	v_mul_f64 v[144:145], v[72:73], s[10:11]
	v_fma_f64 v[194:195], v[70:71], s[40:41], v[114:115]
	v_add_f64 v[48:49], v[16:17], v[48:49]
	v_add_f64 v[56:57], v[16:17], v[56:57]
	;; [unrolled: 1-line block ×6, first 2 shown]
	v_fma_f64 v[192:193], v[150:151], s[24:25], -v[110:111]
	v_fma_f64 v[196:197], v[150:151], s[40:41], -v[118:119]
	v_fma_f64 v[200:201], v[150:151], s[20:21], -v[126:127]
	v_fma_f64 v[204:205], v[161:162], s[18:19], -v[138:139]
	v_fma_f64 v[208:209], v[161:162], s[8:9], -v[144:145]
	v_add_f64 v[48:49], v[78:79], v[48:49]
	v_add_f64 v[56:57], v[100:101], v[56:57]
	;; [unrolled: 1-line block ×4, first 2 shown]
	v_add_f64 v[78:79], v[28:29], -v[24:25]
	v_add_f64 v[50:51], v[80:81], v[50:51]
	v_add_f64 v[80:81], v[40:41], v[20:21]
	;; [unrolled: 1-line block ×3, first 2 shown]
	v_mul_f64 v[92:93], v[177:178], s[28:29]
	v_add_f64 v[58:59], v[108:109], v[58:59]
	v_mul_f64 v[108:109], v[177:178], s[34:35]
	v_add_f64 v[48:49], v[112:113], v[48:49]
	v_add_f64 v[56:57], v[186:187], v[56:57]
	;; [unrolled: 1-line block ×3, first 2 shown]
	v_mul_f64 v[100:101], v[78:79], s[28:29]
	v_add_f64 v[50:51], v[124:125], v[50:51]
	v_mul_f64 v[124:125], v[177:178], s[42:43]
	v_fma_f64 v[186:187], v[80:81], s[40:41], v[128:129]
	v_fma_f64 v[206:207], v[80:81], s[8:9], v[140:141]
	v_add_f64 v[54:55], v[179:180], v[54:55]
	v_add_f64 v[179:180], v[30:31], v[26:27]
	v_mul_f64 v[112:113], v[78:79], s[34:35]
	v_mul_f64 v[130:131], v[78:79], s[42:43]
	v_fma_f64 v[202:203], v[80:81], s[18:19], v[136:137]
	v_add_f64 v[58:59], v[188:189], v[58:59]
	v_fma_f64 v[188:189], v[161:162], s[40:41], -v[134:135]
	v_add_f64 v[48:49], v[190:191], v[48:49]
	v_add_f64 v[56:57], v[198:199], v[56:57]
	v_fma_f64 v[190:191], v[90:91], s[30:31], v[92:93]
	v_add_f64 v[52:53], v[194:195], v[52:53]
	v_fma_f64 v[194:195], v[90:91], s[20:21], v[108:109]
	;; [unrolled: 2-line block ×3, first 2 shown]
	v_add_f64 v[54:55], v[196:197], v[54:55]
	v_fma_f64 v[192:193], v[179:180], s[30:31], -v[100:101]
	v_fma_f64 v[196:197], v[179:180], s[20:21], -v[112:113]
	v_add_f64 v[58:59], v[200:201], v[58:59]
	v_fma_f64 v[200:201], v[179:180], s[40:41], -v[130:131]
	v_add_f64 v[48:49], v[186:187], v[48:49]
	v_add_f64 v[186:187], v[206:207], v[56:57]
	;; [unrolled: 1-line block ×8, first 2 shown]
	scratch_load_b32 v186, off, off         ; 4-byte Folded Reload
	v_add_f64 v[52:53], v[194:195], v[52:53]
	v_add_f64 v[58:59], v[192:193], v[50:51]
	;; [unrolled: 1-line block ×4, first 2 shown]
	s_waitcnt vmcnt(0)
	v_mul_lo_u16 v186, v186, 13
	scratch_store_b32 off, v186, off offset:52 ; 4-byte Folded Spill
	s_waitcnt lgkmcnt(0)
	s_waitcnt_vscnt null, 0x0
	s_barrier
	buffer_gl0_inv
	s_and_saveexec_b32 s33, vcc_lo
	s_cbranch_execz .LBB0_7
; %bb.6:
	v_add_f64 v[34:35], v[18:19], v[34:35]
	v_add_f64 v[32:33], v[16:17], v[32:33]
	v_mul_f64 v[186:187], v[171:172], s[20:21]
	v_mul_f64 v[188:189], v[94:95], s[8:9]
	;; [unrolled: 1-line block ×6, first 2 shown]
	s_mov_b32 s45, 0x3fcea1e5
	s_mov_b32 s44, s28
	;; [unrolled: 1-line block ×4, first 2 shown]
	v_mul_f64 v[196:197], v[175:176], s[8:9]
	v_mul_f64 v[198:199], v[68:69], s[24:25]
	;; [unrolled: 1-line block ×20, first 2 shown]
	v_add_f64 v[34:35], v[34:35], v[38:39]
	v_add_f64 v[32:33], v[32:33], v[36:37]
	v_mul_f64 v[36:37], v[171:172], s[30:31]
	v_mul_f64 v[38:39], v[173:174], s[28:29]
	v_add_f64 v[163:164], v[188:189], -v[163:164]
	v_add_f64 v[167:168], v[192:193], -v[167:168]
	v_add_f64 v[158:159], v[158:159], v[186:187]
	v_fma_f64 v[250:251], v[102:103], s[0:1], v[224:225]
	v_mul_f64 v[186:187], v[80:81], s[18:19]
	v_mul_f64 v[188:189], v[161:162], s[18:19]
	v_add_f64 v[76:77], v[76:77], v[196:197]
	v_add_f64 v[86:87], v[198:199], -v[86:87]
	v_add_f64 v[88:89], v[88:89], v[200:201]
	v_add_f64 v[98:99], v[98:99], v[204:205]
	v_mul_f64 v[196:197], v[82:83], s[16:17]
	v_add_f64 v[142:143], v[142:143], v[212:213]
	v_mul_f64 v[212:213], v[150:151], s[30:31]
	v_add_f64 v[152:153], v[152:153], v[216:217]
	v_fma_f64 v[248:249], v[68:69], s[20:21], v[220:221]
	v_fma_f64 v[220:221], v[68:69], s[20:21], -v[220:221]
	v_add_f64 v[116:117], v[116:117], v[208:209]
	v_mul_f64 v[216:217], v[161:162], s[8:9]
	v_mul_f64 v[200:201], v[90:91], s[20:21]
	v_add_f64 v[74:75], v[194:195], -v[74:75]
	v_add_f64 v[84:85], v[202:203], -v[84:85]
	v_mul_f64 v[202:203], v[150:151], s[8:9]
	v_add_f64 v[122:123], v[210:211], -v[122:123]
	v_add_f64 v[106:107], v[206:207], -v[106:107]
	v_mul_f64 v[206:207], v[161:162], s[24:25]
	v_add_f64 v[110:111], v[110:111], v[226:227]
	v_add_f64 v[148:149], v[214:215], -v[148:149]
	v_add_f64 v[104:105], v[222:223], -v[104:105]
	v_mul_f64 v[198:199], v[179:180], s[20:21]
	v_mul_f64 v[194:195], v[90:91], s[40:41]
	;; [unrolled: 1-line block ×4, first 2 shown]
	v_add_f64 v[34:35], v[34:35], v[46:47]
	v_add_f64 v[32:33], v[32:33], v[44:45]
	v_mul_f64 v[44:45], v[171:172], s[40:41]
	v_mul_f64 v[46:47], v[173:174], s[42:43]
	;; [unrolled: 1-line block ×3, first 2 shown]
	v_fma_f64 v[234:235], v[96:97], s[44:45], v[36:37]
	v_fma_f64 v[236:237], v[94:95], s[30:31], v[38:39]
	;; [unrolled: 1-line block ×3, first 2 shown]
	v_fma_f64 v[38:39], v[94:95], s[30:31], -v[38:39]
	v_add_f64 v[167:168], v[16:17], v[167:168]
	v_add_f64 v[163:164], v[16:17], v[163:164]
	v_add_f64 v[136:137], v[186:187], -v[136:137]
	v_add_f64 v[138:139], v[138:139], v[188:189]
	v_mul_f64 v[214:215], v[179:180], s[30:31]
	v_mul_f64 v[204:205], v[90:91], s[30:31]
	v_add_f64 v[108:109], v[200:201], -v[108:109]
	v_add_f64 v[34:35], v[34:35], v[62:63]
	v_add_f64 v[32:33], v[32:33], v[60:61]
	v_mul_f64 v[60:61], v[171:172], s[24:25]
	v_mul_f64 v[62:63], v[94:95], s[20:21]
	;; [unrolled: 1-line block ×3, first 2 shown]
	v_fma_f64 v[238:239], v[96:97], s[38:39], v[44:45]
	v_fma_f64 v[44:45], v[96:97], s[42:43], v[44:45]
	;; [unrolled: 1-line block ×3, first 2 shown]
	v_fma_f64 v[46:47], v[94:95], s[40:41], -v[46:47]
	v_fma_f64 v[244:245], v[94:95], s[24:25], v[173:174]
	v_fma_f64 v[94:95], v[94:95], s[24:25], -v[173:174]
	v_add_f64 v[234:235], v[18:19], v[234:235]
	v_add_f64 v[236:237], v[16:17], v[236:237]
	;; [unrolled: 1-line block ×5, first 2 shown]
	v_mul_f64 v[173:174], v[161:162], s[40:41]
	v_fma_f64 v[163:164], v[70:71], s[18:19], v[196:197]
	v_add_f64 v[84:85], v[84:85], v[167:168]
	v_add_f64 v[100:101], v[100:101], v[214:215]
	v_add_f64 v[92:93], v[204:205], -v[92:93]
	v_add_f64 v[34:35], v[34:35], v[42:43]
	v_add_f64 v[32:33], v[32:33], v[40:41]
	v_mul_f64 v[40:41], v[175:176], s[20:21]
	v_mul_f64 v[42:43], v[181:182], s[42:43]
	;; [unrolled: 1-line block ×4, first 2 shown]
	v_fma_f64 v[242:243], v[96:97], s[26:27], v[60:61]
	v_fma_f64 v[60:61], v[96:97], s[22:23], v[60:61]
	v_add_f64 v[96:97], v[169:170], v[190:191]
	v_add_f64 v[165:166], v[165:166], v[171:172]
	v_add_f64 v[62:63], v[62:63], -v[156:157]
	v_add_f64 v[44:45], v[18:19], v[44:45]
	v_fma_f64 v[190:191], v[102:103], s[38:39], v[218:219]
	v_fma_f64 v[218:219], v[102:103], s[42:43], v[218:219]
	v_add_f64 v[238:239], v[18:19], v[238:239]
	v_add_f64 v[240:241], v[16:17], v[240:241]
	;; [unrolled: 1-line block ×5, first 2 shown]
	v_mul_f64 v[156:157], v[70:71], s[40:41]
	v_mul_f64 v[169:170], v[150:151], s[20:21]
	v_add_f64 v[38:39], v[220:221], v[38:39]
	v_mul_f64 v[220:221], v[82:83], s[0:1]
	v_mul_f64 v[82:83], v[82:83], s[44:45]
	v_add_f64 v[236:237], v[248:249], v[236:237]
	v_mul_f64 v[248:249], v[146:147], s[22:23]
	v_mul_f64 v[171:172], v[80:81], s[40:41]
	v_add_f64 v[134:135], v[134:135], v[173:174]
	v_add_f64 v[84:85], v[148:149], v[84:85]
	v_add_f64 v[30:31], v[34:35], v[30:31]
	;; [unrolled: 1-line block ×3, first 2 shown]
	v_fma_f64 v[192:193], v[64:65], s[6:7], v[40:41]
	v_fma_f64 v[246:247], v[132:133], s[40:41], v[42:43]
	;; [unrolled: 1-line block ×3, first 2 shown]
	v_fma_f64 v[42:43], v[132:133], s[40:41], -v[42:43]
	v_add_f64 v[242:243], v[18:19], v[242:243]
	v_add_f64 v[60:61], v[18:19], v[60:61]
	;; [unrolled: 1-line block ×6, first 2 shown]
	v_fma_f64 v[62:63], v[64:65], s[16:17], v[228:229]
	v_fma_f64 v[158:159], v[132:133], s[8:9], v[230:231]
	v_mul_f64 v[32:33], v[150:151], s[40:41]
	v_mul_f64 v[34:35], v[70:71], s[20:21]
	;; [unrolled: 1-line block ×3, first 2 shown]
	v_add_f64 v[114:115], v[156:157], -v[114:115]
	v_add_f64 v[126:127], v[126:127], v[169:170]
	v_fma_f64 v[156:157], v[70:71], s[30:31], v[82:83]
	v_add_f64 v[128:129], v[171:172], -v[128:129]
	v_add_f64 v[26:27], v[30:31], v[26:27]
	v_fma_f64 v[30:31], v[102:103], s[10:11], v[224:225]
	v_fma_f64 v[224:225], v[64:65], s[36:37], v[228:229]
	v_add_f64 v[24:25], v[28:29], v[24:25]
	v_fma_f64 v[28:29], v[68:69], s[18:19], v[232:233]
	v_fma_f64 v[228:229], v[132:133], s[8:9], -v[230:231]
	v_fma_f64 v[230:231], v[68:69], s[18:19], -v[232:233]
	v_fma_f64 v[232:233], v[102:103], s[6:7], v[183:184]
	v_fma_f64 v[102:103], v[102:103], s[34:35], v[183:184]
	;; [unrolled: 1-line block ×5, first 2 shown]
	v_fma_f64 v[132:133], v[132:133], s[20:21], -v[181:182]
	v_fma_f64 v[181:182], v[68:69], s[40:41], v[154:155]
	v_fma_f64 v[68:69], v[68:69], s[40:41], -v[154:155]
	v_add_f64 v[192:193], v[192:193], v[234:235]
	v_add_f64 v[36:37], v[40:41], v[36:37]
	;; [unrolled: 1-line block ×3, first 2 shown]
	v_mul_f64 v[238:239], v[161:162], s[20:21]
	v_add_f64 v[88:89], v[88:89], v[165:166]
	v_add_f64 v[18:19], v[76:77], v[18:19]
	v_fma_f64 v[76:77], v[66:67], s[44:45], v[212:213]
	v_mul_f64 v[40:41], v[179:180], s[24:25]
	v_mul_f64 v[161:162], v[161:162], s[30:31]
	v_add_f64 v[16:17], v[74:75], v[16:17]
	v_fma_f64 v[74:75], v[66:67], s[28:29], v[212:213]
	v_add_f64 v[34:35], v[34:35], -v[120:121]
	v_add_f64 v[32:33], v[118:119], v[32:33]
	v_fma_f64 v[118:119], v[70:71], s[8:9], v[220:221]
	v_fma_f64 v[120:121], v[70:71], s[8:9], -v[220:221]
	v_add_f64 v[38:39], v[42:43], v[38:39]
	v_mul_f64 v[154:155], v[80:81], s[8:9]
	v_add_f64 v[165:166], v[246:247], v[236:237]
	v_mul_f64 v[234:235], v[177:178], s[36:37]
	v_mul_f64 v[179:180], v[179:180], s[8:9]
	v_add_f64 v[22:23], v[26:27], v[22:23]
	v_fma_f64 v[26:27], v[66:67], s[0:1], v[202:203]
	v_add_f64 v[44:45], v[224:225], v[44:45]
	v_mul_f64 v[224:225], v[146:147], s[34:35]
	v_mul_f64 v[146:147], v[146:147], s[44:45]
	v_add_f64 v[20:21], v[24:25], v[20:21]
	v_fma_f64 v[24:25], v[66:67], s[10:11], v[202:203]
	v_add_f64 v[28:29], v[28:29], v[240:241]
	v_add_f64 v[46:47], v[230:231], v[46:47]
	v_mul_f64 v[240:241], v[177:178], s[22:23]
	v_add_f64 v[60:61], v[64:65], v[60:61]
	v_add_f64 v[64:65], v[98:99], v[96:97]
	v_fma_f64 v[98:99], v[66:67], s[36:37], v[150:151]
	v_add_f64 v[96:97], v[181:182], v[244:245]
	v_add_f64 v[68:69], v[68:69], v[94:95]
	;; [unrolled: 1-line block ×3, first 2 shown]
	v_fma_f64 v[66:67], v[66:67], s[16:17], v[150:151]
	v_fma_f64 v[150:151], v[70:71], s[18:19], -v[196:197]
	v_fma_f64 v[70:71], v[70:71], s[30:31], -v[82:83]
	v_add_f64 v[82:83], v[190:191], v[192:193]
	v_add_f64 v[36:37], v[218:219], v[36:37]
	;; [unrolled: 1-line block ×5, first 2 shown]
	v_fma_f64 v[116:117], v[72:73], s[34:35], v[238:239]
	v_add_f64 v[16:17], v[106:107], v[16:17]
	v_add_f64 v[142:143], v[144:145], v[216:217]
	;; [unrolled: 1-line block ×3, first 2 shown]
	v_mul_f64 v[177:178], v[177:178], s[0:1]
	v_add_f64 v[140:141], v[154:155], -v[140:141]
	v_add_f64 v[14:15], v[22:23], v[14:15]
	v_fma_f64 v[22:23], v[80:81], s[24:25], v[248:249]
	v_add_f64 v[30:31], v[30:31], v[44:45]
	v_fma_f64 v[106:107], v[80:81], s[20:21], v[224:225]
	v_fma_f64 v[144:145], v[80:81], s[30:31], v[146:147]
	v_add_f64 v[12:13], v[20:21], v[12:13]
	v_fma_f64 v[20:21], v[72:73], s[26:27], v[206:207]
	v_add_f64 v[28:29], v[158:159], v[28:29]
	v_add_f64 v[46:47], v[228:229], v[46:47]
	v_fma_f64 v[84:85], v[90:91], s[24:25], -v[240:241]
	v_add_f64 v[44:45], v[102:103], v[60:61]
	v_add_f64 v[60:61], v[152:153], v[64:65]
	;; [unrolled: 1-line block ×6, first 2 shown]
	v_fma_f64 v[94:95], v[72:73], s[22:23], v[206:207]
	v_fma_f64 v[96:97], v[80:81], s[24:25], -v[248:249]
	v_fma_f64 v[102:103], v[72:73], s[6:7], v[238:239]
	v_fma_f64 v[122:123], v[80:81], s[20:21], -v[224:225]
	v_fma_f64 v[132:133], v[72:73], s[28:29], v[161:162]
	v_fma_f64 v[72:73], v[72:73], s[44:45], v[161:162]
	v_fma_f64 v[80:81], v[80:81], s[30:31], -v[146:147]
	v_add_f64 v[24:25], v[24:25], v[82:83]
	v_add_f64 v[26:27], v[26:27], v[36:37]
	v_add_f64 v[36:37], v[120:121], v[38:39]
	v_add_f64 v[38:39], v[74:75], v[42:43]
	v_add_f64 v[32:33], v[32:33], v[62:63]
	v_add_f64 v[18:19], v[110:111], v[18:19]
	v_fma_f64 v[74:75], v[78:79], s[26:27], v[40:41]
	v_fma_f64 v[40:41], v[78:79], s[22:23], v[40:41]
	v_add_f64 v[82:83], v[118:119], v[165:166]
	v_add_f64 v[34:35], v[140:141], v[34:35]
	v_fma_f64 v[110:111], v[90:91], s[8:9], v[177:178]
	v_add_f64 v[10:11], v[14:15], v[10:11]
	v_fma_f64 v[14:15], v[78:79], s[16:17], v[208:209]
	;; [unrolled: 2-line block ×3, first 2 shown]
	v_add_f64 v[8:9], v[12:13], v[8:9]
	v_add_f64 v[12:13], v[104:105], v[16:17]
	;; [unrolled: 1-line block ×11, first 2 shown]
	v_fma_f64 v[68:69], v[78:79], s[36:37], v[208:209]
	v_fma_f64 v[70:71], v[90:91], s[18:19], -v[234:235]
	v_add_f64 v[88:89], v[130:131], v[210:211]
	v_add_f64 v[98:99], v[194:195], -v[124:125]
	v_fma_f64 v[16:17], v[90:91], s[18:19], v[234:235]
	v_fma_f64 v[86:87], v[78:79], s[10:11], v[179:180]
	;; [unrolled: 1-line block ×3, first 2 shown]
	v_add_f64 v[20:21], v[20:21], v[24:25]
	v_add_f64 v[24:25], v[94:95], v[26:27]
	v_add_f64 v[26:27], v[96:97], v[36:37]
	v_add_f64 v[36:37], v[102:103], v[38:39]
	v_add_f64 v[32:33], v[138:139], v[32:33]
	v_fma_f64 v[90:91], v[90:91], s[8:9], -v[177:178]
	v_add_f64 v[22:23], v[22:23], v[82:83]
	v_add_f64 v[30:31], v[116:117], v[30:31]
	v_add_f64 v[82:83], v[128:129], v[12:13]
	v_add_f64 v[28:29], v[106:107], v[28:29]
	v_add_f64 v[46:47], v[122:123], v[46:47]
	v_add_f64 v[38:39], v[72:73], v[42:43]
	v_add_f64 v[42:43], v[142:143], v[44:45]
	v_add_f64 v[44:45], v[136:137], v[60:61]
	v_add_f64 v[72:73], v[10:11], v[6:7]
	v_add_f64 v[60:61], v[80:81], v[62:63]
	v_add_f64 v[62:63], v[132:133], v[64:65]
	v_add_f64 v[64:65], v[144:145], v[66:67]
	v_add_f64 v[66:67], v[134:135], v[18:19]
	v_add_f64 v[80:81], v[8:9], v[4:5]
	v_add_f64 v[6:7], v[14:15], v[20:21]
	v_add_f64 v[10:11], v[68:69], v[24:25]
	v_add_f64 v[8:9], v[70:71], v[26:27]
	v_add_f64 v[24:25], v[98:99], v[34:35]
	v_add_f64 v[14:15], v[74:75], v[36:37]
	v_add_f64 v[4:5], v[16:17], v[22:23]
	v_add_f64 v[18:19], v[40:41], v[30:31]
	scratch_load_b32 v40, off, off offset:52 ; 4-byte Folded Reload
	v_add_f64 v[30:31], v[104:105], v[32:33]
	v_add_f64 v[36:37], v[92:93], v[82:83]
	v_add_f64 v[12:13], v[76:77], v[28:29]
	v_add_f64 v[16:17], v[84:85], v[46:47]
	v_add_f64 v[22:23], v[78:79], v[38:39]
	v_add_f64 v[26:27], v[88:89], v[42:43]
	v_add_f64 v[28:29], v[108:109], v[44:45]
	v_add_f64 v[2:3], v[72:73], v[2:3]
	v_add_f64 v[20:21], v[90:91], v[60:61]
	v_add_f64 v[34:35], v[86:87], v[62:63]
	v_add_f64 v[32:33], v[110:111], v[64:65]
	v_add_f64 v[38:39], v[100:101], v[66:67]
	v_add_f64 v[0:1], v[80:81], v[0:1]
	s_waitcnt vmcnt(0)
	v_and_b32_e32 v40, 0xffff, v40
	s_delay_alu instid0(VALU_DEP_1)
	v_add_lshl_u32 v40, v185, v40, 4
	ds_store_b128 v40, v[48:51] offset:160
	ds_store_b128 v40, v[52:55] offset:176
	;; [unrolled: 1-line block ×10, first 2 shown]
	ds_store_b128 v40, v[0:3]
	ds_store_b128 v40, v[36:39] offset:16
	ds_store_b128 v40, v[56:59] offset:192
.LBB0_7:
	s_or_b32 exec_lo, exec_lo, s33
	scratch_load_b32 v0, off, off           ; 4-byte Folded Reload
	s_waitcnt vmcnt(0) lgkmcnt(0)
	s_barrier
	buffer_gl0_inv
                                        ; implicit-def: $vgpr100_vgpr101
                                        ; implicit-def: $vgpr104_vgpr105
	v_add_lshl_u32 v255, v185, v0, 4
	v_cmp_gt_u16_e64 s0, 13, v0
	ds_load_b128 v[64:67], v255
	ds_load_b128 v[60:63], v255 offset:1040
	ds_load_b128 v[84:87], v255 offset:2288
	;; [unrolled: 1-line block ×9, first 2 shown]
	s_and_saveexec_b32 s1, s0
	s_cbranch_execz .LBB0_9
; %bb.8:
	ds_load_b128 v[48:51], v255 offset:2080
	ds_load_b128 v[52:55], v255 offset:4368
	;; [unrolled: 1-line block ×5, first 2 shown]
.LBB0_9:
	s_or_b32 exec_lo, exec_lo, s1
	scratch_load_b32 v6, off, off           ; 4-byte Folded Reload
	s_mov_b32 s8, 0x134454ff
	s_mov_b32 s9, 0x3fee6f0e
	;; [unrolled: 1-line block ×8, first 2 shown]
	s_waitcnt vmcnt(0)
	v_and_b32_e32 v0, 0xff, v6
	v_add_nc_u16 v1, v6, 0x41
	v_add_nc_u16 v2, v6, 0x82
	s_delay_alu instid0(VALU_DEP_3) | instskip(NEXT) | instid1(VALU_DEP_3)
	v_mul_lo_u16 v0, 0x4f, v0
	v_and_b32_e32 v3, 0xff, v1
	s_delay_alu instid0(VALU_DEP_3) | instskip(NEXT) | instid1(VALU_DEP_3)
	v_and_b32_e32 v4, 0xff, v2
	v_lshrrev_b16 v0, 10, v0
	s_delay_alu instid0(VALU_DEP_3) | instskip(NEXT) | instid1(VALU_DEP_3)
	v_mul_lo_u16 v3, 0x4f, v3
	v_mul_lo_u16 v4, 0x4f, v4
	s_delay_alu instid0(VALU_DEP_3) | instskip(NEXT) | instid1(VALU_DEP_3)
	v_mul_lo_u16 v5, v0, 13
	v_lshrrev_b16 v109, 10, v3
	s_delay_alu instid0(VALU_DEP_3) | instskip(SKIP_1) | instid1(VALU_DEP_4)
	v_lshrrev_b16 v3, 10, v4
	v_and_b32_e32 v0, 0xffff, v0
	v_sub_nc_u16 v4, v6, v5
	s_delay_alu instid0(VALU_DEP_4) | instskip(NEXT) | instid1(VALU_DEP_4)
	v_mul_lo_u16 v5, v109, 13
	v_mul_lo_u16 v3, v3, 13
	s_delay_alu instid0(VALU_DEP_4) | instskip(NEXT) | instid1(VALU_DEP_4)
	v_mul_u32_u24_e32 v0, 0x41, v0
	v_and_b32_e32 v110, 0xff, v4
	s_delay_alu instid0(VALU_DEP_4) | instskip(NEXT) | instid1(VALU_DEP_4)
	v_sub_nc_u16 v1, v1, v5
	v_sub_nc_u16 v108, v2, v3
	s_delay_alu instid0(VALU_DEP_3) | instskip(NEXT) | instid1(VALU_DEP_3)
	v_lshlrev_b32_e32 v2, 6, v110
	v_and_b32_e32 v111, 0xff, v1
	s_delay_alu instid0(VALU_DEP_3)
	v_lshlrev_b16 v1, 2, v108
	v_add_nc_u32_e32 v0, v0, v110
	s_clause 0x3
	global_load_b128 v[32:35], v2, s[2:3] offset:16
	global_load_b128 v[40:43], v2, s[2:3]
	global_load_b128 v[28:31], v2, s[2:3] offset:48
	global_load_b128 v[36:39], v2, s[2:3] offset:32
	v_lshlrev_b32_e32 v2, 6, v111
	v_and_b32_e32 v1, 0xfc, v1
	s_clause 0x3
	global_load_b128 v[161:164], v2, s[2:3] offset:16
	global_load_b128 v[18:21], v2, s[2:3] offset:48
	;; [unrolled: 1-line block ×3, first 2 shown]
	global_load_b128 v[44:47], v2, s[2:3]
	v_lshlrev_b32_e32 v1, 4, v1
	s_clause 0x3
	global_load_b128 v[6:9], v1, s[2:3] offset:16
	global_load_b128 v[2:5], v1, s[2:3] offset:32
	global_load_b128 v[14:17], v1, s[2:3]
	global_load_b128 v[10:13], v1, s[2:3] offset:48
	s_waitcnt vmcnt(11) lgkmcnt(5)
	v_mul_f64 v[114:115], v[90:91], v[34:35]
	s_waitcnt vmcnt(10)
	v_mul_f64 v[112:113], v[86:87], v[42:43]
	s_waitcnt vmcnt(9) lgkmcnt(1)
	v_mul_f64 v[118:119], v[98:99], v[30:31]
	s_waitcnt vmcnt(8)
	v_mul_f64 v[116:117], v[94:95], v[38:39]
	v_mul_f64 v[120:121], v[88:89], v[34:35]
	;; [unrolled: 1-line block ×3, first 2 shown]
	s_waitcnt vmcnt(7)
	v_mul_f64 v[128:129], v[74:75], v[163:164]
	v_mul_f64 v[136:137], v[72:73], v[163:164]
	s_waitcnt vmcnt(5)
	v_mul_f64 v[130:131], v[78:79], v[26:27]
	v_mul_f64 v[138:139], v[76:77], v[26:27]
	s_waitcnt vmcnt(4)
	v_mul_f64 v[140:141], v[68:69], v[46:47]
	s_waitcnt lgkmcnt(0)
	v_mul_f64 v[142:143], v[80:81], v[20:21]
	s_waitcnt vmcnt(3)
	v_mul_f64 v[144:145], v[58:59], v[8:9]
	s_waitcnt vmcnt(2)
	v_mul_f64 v[146:147], v[102:103], v[4:5]
	v_mul_f64 v[152:153], v[56:57], v[8:9]
	;; [unrolled: 1-line block ×7, first 2 shown]
	s_waitcnt vmcnt(1)
	v_mul_f64 v[148:149], v[54:55], v[16:17]
	s_waitcnt vmcnt(0)
	v_mul_f64 v[150:151], v[106:107], v[12:13]
	v_mul_f64 v[156:157], v[52:53], v[16:17]
	;; [unrolled: 1-line block ×3, first 2 shown]
	s_clause 0x3
	scratch_store_b128 off, v[161:164], off offset:72
	scratch_store_b128 off, v[2:5], off offset:100
	;; [unrolled: 1-line block ×4, first 2 shown]
	v_fma_f64 v[88:89], v[88:89], v[32:33], -v[114:115]
	v_fma_f64 v[84:85], v[84:85], v[40:41], -v[112:113]
	;; [unrolled: 1-line block ×4, first 2 shown]
	v_fma_f64 v[90:91], v[90:91], v[32:33], v[120:121]
	v_fma_f64 v[94:95], v[94:95], v[36:37], v[122:123]
	v_fma_f64 v[112:113], v[72:73], v[161:162], -v[128:129]
	v_fma_f64 v[116:117], v[74:75], v[161:162], v[136:137]
	v_fma_f64 v[114:115], v[76:77], v[24:25], -v[130:131]
	v_fma_f64 v[118:119], v[78:79], v[24:25], v[138:139]
	v_fma_f64 v[70:71], v[70:71], v[44:45], v[140:141]
	;; [unrolled: 1-line block ×3, first 2 shown]
	v_fma_f64 v[72:73], v[56:57], v[6:7], -v[144:145]
	v_fma_f64 v[56:57], v[100:101], v[2:3], -v[146:147]
	v_fma_f64 v[76:77], v[58:59], v[6:7], v[152:153]
	v_fma_f64 v[58:59], v[102:103], v[2:3], v[154:155]
	;; [unrolled: 1-line block ×4, first 2 shown]
	v_fma_f64 v[68:69], v[68:69], v[44:45], -v[132:133]
	v_fma_f64 v[80:81], v[80:81], v[18:19], -v[134:135]
	;; [unrolled: 1-line block ×4, first 2 shown]
	v_fma_f64 v[78:79], v[54:55], v[14:15], v[156:157]
	v_fma_f64 v[54:55], v[106:107], v[10:11], v[158:159]
	v_add_f64 v[126:127], v[64:65], v[84:85]
	v_add_f64 v[102:103], v[84:85], v[96:97]
	;; [unrolled: 1-line block ×3, first 2 shown]
	v_add_f64 v[138:139], v[84:85], -v[88:89]
	v_add_f64 v[104:105], v[90:91], v[94:95]
	v_add_f64 v[134:135], v[90:91], -v[94:95]
	v_add_f64 v[142:143], v[96:97], -v[92:93]
	v_add_f64 v[120:121], v[112:113], v[114:115]
	v_add_f64 v[124:125], v[116:117], v[118:119]
	;; [unrolled: 1-line block ×4, first 2 shown]
	v_add_f64 v[146:147], v[88:89], -v[84:85]
	v_add_f64 v[132:133], v[72:73], v[56:57]
	v_add_f64 v[148:149], v[92:93], -v[96:97]
	v_add_f64 v[140:141], v[76:77], v[58:59]
	v_add_f64 v[150:151], v[66:67], v[86:87]
	;; [unrolled: 1-line block ×3, first 2 shown]
	v_add_f64 v[130:131], v[86:87], -v[98:99]
	v_add_f64 v[122:123], v[68:69], v[80:81]
	v_add_f64 v[84:85], v[84:85], -v[96:97]
	v_add_f64 v[136:137], v[74:75], v[52:53]
	;; [unrolled: 2-line block ×4, first 2 shown]
	v_add_f64 v[163:164], v[70:71], -v[82:83]
	v_add_f64 v[165:166], v[116:117], -v[118:119]
	v_add_f64 v[167:168], v[68:69], -v[112:113]
	v_add_f64 v[173:174], v[112:113], -v[68:69]
	v_add_f64 v[68:69], v[68:69], -v[80:81]
	v_add_f64 v[177:178], v[76:77], -v[58:59]
	v_add_f64 v[181:182], v[72:73], -v[56:57]
	v_add_f64 v[154:155], v[86:87], -v[90:91]
	v_add_f64 v[156:157], v[98:99], -v[94:95]
	v_add_f64 v[86:87], v[90:91], -v[86:87]
	v_add_f64 v[158:159], v[94:95], -v[98:99]
	v_add_f64 v[169:170], v[80:81], -v[114:115]
	v_add_f64 v[186:187], v[74:75], -v[72:73]
	v_add_f64 v[188:189], v[52:53], -v[56:57]
	v_add_f64 v[194:195], v[78:79], -v[76:77]
	v_fma_f64 v[100:101], v[100:101], -0.5, v[64:65]
	v_fma_f64 v[64:65], v[102:103], -0.5, v[64:65]
	;; [unrolled: 1-line block ×3, first 2 shown]
	v_add_f64 v[102:103], v[114:115], -v[80:81]
	v_add_f64 v[196:197], v[54:55], -v[58:59]
	v_fma_f64 v[120:121], v[120:121], -0.5, v[60:61]
	v_fma_f64 v[124:125], v[124:125], -0.5, v[62:63]
	v_add_f64 v[175:176], v[70:71], -v[116:117]
	v_fma_f64 v[62:63], v[128:129], -0.5, v[62:63]
	v_add_f64 v[128:129], v[78:79], -v[54:55]
	;; [unrolled: 2-line block ×3, first 2 shown]
	v_fma_f64 v[140:141], v[140:141], -0.5, v[50:51]
	v_add_f64 v[88:89], v[126:127], v[88:89]
	v_fma_f64 v[66:67], v[106:107], -0.5, v[66:67]
	v_add_f64 v[106:107], v[112:113], -v[114:115]
	v_fma_f64 v[60:61], v[122:123], -0.5, v[60:61]
	v_add_f64 v[126:127], v[138:139], v[142:143]
	v_fma_f64 v[136:137], v[136:137], -0.5, v[48:49]
	v_add_f64 v[138:139], v[146:147], v[148:149]
	;; [unrolled: 2-line block ×3, first 2 shown]
	v_add_f64 v[112:113], v[161:162], v[112:113]
	v_add_f64 v[116:117], v[171:172], v[116:117]
	v_add_f64 v[122:123], v[82:83], -v[118:119]
	v_add_f64 v[190:191], v[72:73], -v[74:75]
	;; [unrolled: 1-line block ×6, first 2 shown]
	v_add_f64 v[154:155], v[154:155], v[156:157]
	v_add_f64 v[156:157], v[86:87], v[158:159]
	;; [unrolled: 1-line block ×4, first 2 shown]
	v_fma_f64 v[142:143], v[130:131], s[8:9], v[100:101]
	v_fma_f64 v[100:101], v[130:131], s[16:17], v[100:101]
	v_fma_f64 v[146:147], v[134:135], s[16:17], v[64:65]
	v_fma_f64 v[64:65], v[134:135], s[8:9], v[64:65]
	v_fma_f64 v[148:149], v[84:85], s[16:17], v[104:105]
	v_fma_f64 v[104:105], v[84:85], s[8:9], v[104:105]
	v_fma_f64 v[161:162], v[163:164], s[8:9], v[120:121]
	v_fma_f64 v[202:203], v[68:69], s[16:17], v[124:125]
	v_fma_f64 v[124:125], v[68:69], s[8:9], v[124:125]
	v_add_f64 v[102:103], v[173:174], v[102:103]
	v_fma_f64 v[206:207], v[128:129], s[8:9], v[132:133]
	v_fma_f64 v[132:133], v[128:129], s[16:17], v[132:133]
	;; [unrolled: 1-line block ×13, first 2 shown]
	v_add_f64 v[173:174], v[194:195], v[196:197]
	v_fma_f64 v[120:121], v[163:164], s[16:17], v[120:121]
	v_fma_f64 v[60:61], v[165:166], s[8:9], v[60:61]
	v_add_f64 v[86:87], v[88:89], v[92:93]
	v_add_f64 v[88:89], v[90:91], v[94:95]
	;; [unrolled: 1-line block ×8, first 2 shown]
	v_fma_f64 v[94:95], v[134:135], s[6:7], v[142:143]
	v_fma_f64 v[100:101], v[134:135], s[10:11], v[100:101]
	;; [unrolled: 1-line block ×19, first 2 shown]
	s_mov_b32 s6, 0x372fe950
	s_mov_b32 s7, 0x3fd3c6ef
	v_fma_f64 v[128:129], v[128:129], s[10:11], v[136:137]
	v_fma_f64 v[120:121], v[165:166], s[10:11], v[120:121]
	;; [unrolled: 1-line block ×5, first 2 shown]
	v_add_f64 v[60:61], v[86:87], v[96:97]
	v_add_f64 v[62:63], v[88:89], v[98:99]
	;; [unrolled: 1-line block ×4, first 2 shown]
	v_fma_f64 v[80:81], v[126:127], s[6:7], v[94:95]
	v_fma_f64 v[84:85], v[126:127], s[6:7], v[100:101]
	;; [unrolled: 1-line block ×12, first 2 shown]
	scratch_store_b128 off, v[10:13], off offset:132 ; 16-byte Folded Spill
	v_fma_f64 v[90:91], v[156:157], s[6:7], v[118:119]
	v_fma_f64 v[116:117], v[102:103], s[6:7], v[142:143]
	;; [unrolled: 1-line block ×11, first 2 shown]
	scratch_store_b128 off, v[3:6], off offset:28 ; 16-byte Folded Spill
	v_fma_f64 v[3:4], v[175:176], s[6:7], v[144:145]
	scratch_store_b128 off, v[18:21], off offset:56 ; 16-byte Folded Spill
	s_load_b128 s[4:7], s[4:5], 0x0
	scratch_store_b128 off, v[1:4], off offset:12 ; 16-byte Folded Spill
	v_and_b32_e32 v1, 0xffff, v109
	v_add_lshl_u32 v2, v185, v0, 4
	s_waitcnt lgkmcnt(0)
	s_waitcnt_vscnt null, 0x0
	s_barrier
	buffer_gl0_inv
	v_mul_u32_u24_e32 v1, 0x41, v1
	ds_store_b128 v2, v[60:63]
	ds_store_b128 v2, v[80:83] offset:208
	ds_store_b128 v2, v[88:91] offset:416
	;; [unrolled: 1-line block ×4, first 2 shown]
	v_add_nc_u32_e32 v0, v1, v111
	s_delay_alu instid0(VALU_DEP_1)
	v_add_lshl_u32 v1, v185, v0, 4
	v_and_b32_e32 v0, 0xff, v108
	s_clause 0x1
	scratch_store_b32 off, v2, off offset:96
	scratch_store_b32 off, v0, off offset:88
	ds_store_b128 v1, v[64:67]
	ds_store_b128 v1, v[104:107] offset:208
	ds_store_b128 v1, v[116:119] offset:416
	;; [unrolled: 1-line block ×3, first 2 shown]
	scratch_store_b32 off, v1, off offset:92 ; 4-byte Folded Spill
	ds_store_b128 v1, v[112:115] offset:832
	s_and_saveexec_b32 s1, s0
	s_cbranch_execz .LBB0_11
; %bb.10:
	s_clause 0x1
	scratch_load_b32 v0, off, off offset:88
	scratch_load_b128 v[1:4], off, off offset:12
	v_add_f64 v[50:51], v[50:51], v[78:79]
	v_add_f64 v[48:49], v[48:49], v[74:75]
	s_delay_alu instid0(VALU_DEP_2) | instskip(NEXT) | instid1(VALU_DEP_2)
	v_add_f64 v[50:51], v[50:51], v[76:77]
	v_add_f64 v[48:49], v[48:49], v[72:73]
	s_delay_alu instid0(VALU_DEP_2) | instskip(NEXT) | instid1(VALU_DEP_2)
	;; [unrolled: 3-line block ×3, first 2 shown]
	v_add_f64 v[50:51], v[50:51], v[54:55]
	v_add_f64 v[48:49], v[48:49], v[52:53]
	s_waitcnt vmcnt(1)
	v_add_lshl_u32 v0, v185, v0, 4
	ds_store_b128 v0, v[96:99] offset:10816
	s_waitcnt vmcnt(0)
	ds_store_b128 v0, v[1:4] offset:11024
	ds_store_b128 v0, v[48:51] offset:10400
	;; [unrolled: 1-line block ×3, first 2 shown]
	scratch_load_b128 v[1:4], off, off offset:28 ; 16-byte Folded Reload
	s_waitcnt vmcnt(0)
	ds_store_b128 v0, v[1:4] offset:11232
.LBB0_11:
	s_or_b32 exec_lo, exec_lo, s1
	scratch_load_b32 v160, off, off         ; 4-byte Folded Reload
	s_waitcnt vmcnt(0) lgkmcnt(0)
	s_waitcnt_vscnt null, 0x0
	s_barrier
	buffer_gl0_inv
	s_mov_b32 s26, 0xf8bb580b
	s_mov_b32 s20, 0x43842ef
	s_mov_b32 s24, 0xbb3a28a1
	s_mov_b32 s28, 0xfd768dbf
	s_mov_b32 s27, 0xbfe14ced
	s_mov_b32 s23, 0xbfed1bb4
	s_mov_b32 s22, 0x8eee2c13
	s_mov_b32 s21, 0xbfefac9e
	s_mov_b32 s25, 0xbfe82f19
	s_mov_b32 s29, 0xbfd207e7
	s_mov_b32 s18, 0x8764f0ba
	s_mov_b32 s10, 0xd9c712b6
	s_mov_b32 s16, 0x640f44db
	s_mov_b32 s8, 0x7f775887
	s_mov_b32 s19, 0x3feaeb8c
	s_mov_b32 s11, 0x3fda9628
	s_mov_b32 s17, 0xbfc2375f
	s_mov_b32 s9, 0xbfe4f49e
	s_mov_b32 s31, 0x3fd207e7
	s_mov_b32 s30, s28
	s_mov_b32 s35, 0x3fefac9e
	s_mov_b32 s34, s20
	s_mov_b32 s37, 0x3fe14ced
	s_mov_b32 s36, s26
	v_mad_u64_u32 v[88:89], null, 0xa0, v160, s[2:3]
	s_mov_b32 s2, 0x9bcd5057
	s_mov_b32 s3, 0xbfeeb42a
	s_clause 0x3
	global_load_b128 v[56:59], v[88:89], off offset:832
	global_load_b128 v[48:51], v[88:89], off offset:976
	;; [unrolled: 1-line block ×4, first 2 shown]
	ds_load_b128 v[72:75], v255 offset:1040
	ds_load_b128 v[76:79], v255 offset:10400
	ds_load_b128 v[64:67], v255
	s_waitcnt vmcnt(3) lgkmcnt(2)
	v_mul_f64 v[80:81], v[74:75], v[58:59]
	v_mul_f64 v[82:83], v[72:73], v[58:59]
	s_waitcnt vmcnt(2) lgkmcnt(1)
	v_mul_f64 v[86:87], v[78:79], v[50:51]
	v_mul_f64 v[84:85], v[76:77], v[50:51]
	s_delay_alu instid0(VALU_DEP_4) | instskip(NEXT) | instid1(VALU_DEP_4)
	v_fma_f64 v[112:113], v[72:73], v[56:57], -v[80:81]
	v_fma_f64 v[114:115], v[74:75], v[56:57], v[82:83]
	ds_load_b128 v[72:75], v255 offset:2080
	ds_load_b128 v[80:83], v255 offset:3120
	v_fma_f64 v[146:147], v[76:77], v[48:49], -v[86:87]
	v_fma_f64 v[144:145], v[78:79], v[48:49], v[84:85]
	s_waitcnt vmcnt(1) lgkmcnt(1)
	v_mul_f64 v[76:77], v[74:75], v[62:63]
	v_add_f64 v[187:188], v[64:65], v[112:113]
	v_add_f64 v[189:190], v[66:67], v[114:115]
	;; [unrolled: 1-line block ×4, first 2 shown]
	v_fma_f64 v[152:153], v[72:73], v[60:61], -v[76:77]
	v_mul_f64 v[72:73], v[72:73], v[62:63]
	s_delay_alu instid0(VALU_DEP_1) | instskip(SKIP_4) | instid1(VALU_DEP_1)
	v_fma_f64 v[154:155], v[74:75], v[60:61], v[72:73]
	ds_load_b128 v[72:75], v255 offset:9360
	ds_load_b128 v[90:93], v255 offset:8320
	s_waitcnt vmcnt(0) lgkmcnt(1)
	v_mul_f64 v[76:77], v[72:73], v[54:55]
	v_fma_f64 v[156:157], v[74:75], v[52:53], v[76:77]
	v_mul_f64 v[74:75], v[74:75], v[54:55]
	s_delay_alu instid0(VALU_DEP_2) | instskip(NEXT) | instid1(VALU_DEP_2)
	v_add_f64 v[197:198], v[154:155], v[156:157]
	v_fma_f64 v[158:159], v[72:73], v[52:53], -v[74:75]
	s_clause 0x1
	global_load_b128 v[76:79], v[88:89], off offset:864
	global_load_b128 v[72:75], v[88:89], off offset:880
	v_add_f64 v[193:194], v[152:153], v[158:159]
	s_waitcnt vmcnt(1)
	v_mul_f64 v[84:85], v[82:83], v[78:79]
	s_delay_alu instid0(VALU_DEP_1) | instskip(SKIP_1) | instid1(VALU_DEP_1)
	v_fma_f64 v[161:162], v[80:81], v[76:77], -v[84:85]
	v_mul_f64 v[80:81], v[80:81], v[78:79]
	v_fma_f64 v[163:164], v[82:83], v[76:77], v[80:81]
	s_clause 0x1
	global_load_b128 v[84:87], v[88:89], off offset:944
	global_load_b128 v[80:83], v[88:89], off offset:928
	s_waitcnt vmcnt(1) lgkmcnt(0)
	v_mul_f64 v[94:95], v[90:91], v[86:87]
	s_delay_alu instid0(VALU_DEP_1) | instskip(SKIP_1) | instid1(VALU_DEP_2)
	v_fma_f64 v[165:166], v[92:93], v[84:85], v[94:95]
	v_mul_f64 v[92:93], v[92:93], v[86:87]
	v_add_f64 v[207:208], v[163:164], v[165:166]
	s_delay_alu instid0(VALU_DEP_2)
	v_fma_f64 v[167:168], v[90:91], v[84:85], -v[92:93]
	ds_load_b128 v[90:93], v255 offset:4160
	ds_load_b128 v[104:107], v255 offset:5200
	s_waitcnt lgkmcnt(1)
	v_mul_f64 v[94:95], v[92:93], v[74:75]
	v_add_f64 v[201:202], v[161:162], v[167:168]
	v_add_f64 v[205:206], v[161:162], -v[167:168]
	s_delay_alu instid0(VALU_DEP_3) | instskip(SKIP_1) | instid1(VALU_DEP_3)
	v_fma_f64 v[169:170], v[90:91], v[72:73], -v[94:95]
	v_mul_f64 v[90:91], v[90:91], v[74:75]
	v_mul_f64 v[209:210], v[205:206], s[20:21]
	;; [unrolled: 1-line block ×3, first 2 shown]
	s_delay_alu instid0(VALU_DEP_3) | instskip(SKIP_4) | instid1(VALU_DEP_1)
	v_fma_f64 v[171:172], v[92:93], v[72:73], v[90:91]
	ds_load_b128 v[90:93], v255 offset:7280
	ds_load_b128 v[108:111], v255 offset:6240
	s_waitcnt vmcnt(0) lgkmcnt(1)
	v_mul_f64 v[94:95], v[92:93], v[82:83]
	v_fma_f64 v[173:174], v[90:91], v[80:81], -v[94:95]
	v_mul_f64 v[90:91], v[90:91], v[82:83]
	s_delay_alu instid0(VALU_DEP_2) | instskip(NEXT) | instid1(VALU_DEP_2)
	v_add_f64 v[213:214], v[169:170], v[173:174]
	v_fma_f64 v[175:176], v[92:93], v[80:81], v[90:91]
	s_clause 0x1
	global_load_b128 v[92:95], v[88:89], off offset:896
	global_load_b128 v[88:91], v[88:89], off offset:912
	v_add_f64 v[217:218], v[169:170], -v[173:174]
	v_add_f64 v[211:212], v[171:172], -v[175:176]
	v_add_f64 v[219:220], v[171:172], v[175:176]
	s_delay_alu instid0(VALU_DEP_3)
	v_mul_f64 v[221:222], v[217:218], s[24:25]
	v_mul_f64 v[245:246], v[217:218], s[34:35]
	;; [unrolled: 1-line block ×7, first 2 shown]
	v_fma_f64 v[6:7], v[219:220], s[18:19], v[4:5]
	v_fma_f64 v[4:5], v[219:220], s[18:19], -v[4:5]
	s_delay_alu instid0(VALU_DEP_4) | instskip(NEXT) | instid1(VALU_DEP_4)
	v_fma_f64 v[2:3], v[213:214], s[18:19], -v[0:1]
	v_fma_f64 v[18:19], v[213:214], s[2:3], -v[16:17]
	v_fma_f64 v[0:1], v[213:214], s[18:19], v[0:1]
	s_waitcnt vmcnt(1)
	v_mul_f64 v[116:117], v[106:107], v[94:95]
	s_delay_alu instid0(VALU_DEP_1) | instskip(SKIP_1) | instid1(VALU_DEP_1)
	v_fma_f64 v[177:178], v[104:105], v[92:93], -v[116:117]
	v_mul_f64 v[104:105], v[104:105], v[94:95]
	v_fma_f64 v[104:105], v[106:107], v[92:93], v[104:105]
	s_waitcnt vmcnt(0) lgkmcnt(0)
	v_mul_f64 v[106:107], v[110:111], v[90:91]
	s_delay_alu instid0(VALU_DEP_1) | instskip(SKIP_1) | instid1(VALU_DEP_2)
	v_fma_f64 v[106:107], v[108:109], v[88:89], -v[106:107]
	v_mul_f64 v[108:109], v[108:109], v[90:91]
	v_add_f64 v[225:226], v[177:178], v[106:107]
	s_delay_alu instid0(VALU_DEP_2) | instskip(SKIP_2) | instid1(VALU_DEP_3)
	v_fma_f64 v[179:180], v[110:111], v[88:89], v[108:109]
	v_add_f64 v[108:109], v[114:115], -v[144:145]
	v_add_f64 v[229:230], v[177:178], -v[106:107]
	;; [unrolled: 1-line block ×3, first 2 shown]
	s_delay_alu instid0(VALU_DEP_3)
	v_mul_f64 v[110:111], v[108:109], s[26:27]
	v_mul_f64 v[116:117], v[108:109], s[22:23]
	;; [unrolled: 1-line block ×5, first 2 shown]
	v_add_f64 v[231:232], v[104:105], v[179:180]
	v_mul_f64 v[233:234], v[229:230], s[28:29]
	v_mul_f64 v[249:250], v[229:230], s[36:37]
	;; [unrolled: 1-line block ×3, first 2 shown]
	v_fma_f64 v[124:125], v[122:123], s[18:19], -v[110:111]
	v_fma_f64 v[110:111], v[122:123], s[18:19], v[110:111]
	v_fma_f64 v[126:127], v[122:123], s[10:11], -v[116:117]
	v_fma_f64 v[116:117], v[122:123], s[10:11], v[116:117]
	;; [unrolled: 2-line block ×5, first 2 shown]
	v_add_f64 v[122:123], v[112:113], -v[146:147]
	v_mul_f64 v[247:248], v[223:224], s[36:37]
	v_mul_f64 v[8:9], v[223:224], s[24:25]
	v_add_f64 v[191:192], v[64:65], v[124:125]
	v_add_f64 v[110:111], v[64:65], v[110:111]
	;; [unrolled: 1-line block ×8, first 2 shown]
	v_mul_f64 v[134:135], v[122:123], s[26:27]
	v_mul_f64 v[136:137], v[122:123], s[22:23]
	;; [unrolled: 1-line block ×5, first 2 shown]
	v_fma_f64 v[10:11], v[225:226], s[8:9], -v[8:9]
	v_fma_f64 v[185:186], v[142:143], s[18:19], -v[134:135]
	v_fma_f64 v[148:149], v[142:143], s[10:11], v[136:137]
	v_fma_f64 v[136:137], v[142:143], s[10:11], -v[136:137]
	v_fma_f64 v[150:151], v[142:143], s[16:17], v[138:139]
	;; [unrolled: 2-line block ×3, first 2 shown]
	v_fma_f64 v[181:182], v[142:143], s[8:9], v[140:141]
	v_fma_f64 v[140:141], v[142:143], s[8:9], -v[140:141]
	v_fma_f64 v[122:123], v[142:143], s[2:3], -v[122:123]
	v_fma_f64 v[134:135], v[142:143], s[18:19], v[134:135]
	v_add_f64 v[112:113], v[66:67], v[185:186]
	v_add_f64 v[124:125], v[66:67], v[148:149]
	;; [unrolled: 1-line block ×3, first 2 shown]
	v_add_f64 v[136:137], v[154:155], -v[156:157]
	v_add_f64 v[128:129], v[66:67], v[150:151]
	v_add_f64 v[150:151], v[66:67], v[183:184]
	;; [unrolled: 1-line block ×3, first 2 shown]
	v_add_f64 v[138:139], v[152:153], -v[158:159]
	v_add_f64 v[142:143], v[66:67], v[181:182]
	v_add_f64 v[148:149], v[64:65], v[132:133]
	;; [unrolled: 1-line block ×4, first 2 shown]
	v_add_f64 v[140:141], v[163:164], -v[165:166]
	v_add_f64 v[122:123], v[66:67], v[122:123]
	v_add_f64 v[66:67], v[66:67], v[134:135]
	v_mul_f64 v[195:196], v[136:137], s[22:23]
	v_mul_f64 v[235:236], v[136:137], s[24:25]
	;; [unrolled: 1-line block ×6, first 2 shown]
	s_mov_b32 s23, 0x3fed1bb4
	v_mul_f64 v[203:204], v[140:141], s[20:21]
	v_mul_f64 v[239:240], v[140:141], s[30:31]
	;; [unrolled: 1-line block ×6, first 2 shown]
	v_fma_f64 v[108:109], v[193:194], s[10:11], v[195:196]
	s_delay_alu instid0(VALU_DEP_3) | instskip(NEXT) | instid1(VALU_DEP_3)
	v_fma_f64 v[14:15], v[201:202], s[18:19], -v[12:13]
	v_fma_f64 v[22:23], v[225:226], s[10:11], -v[20:21]
	v_fma_f64 v[12:13], v[201:202], s[18:19], v[12:13]
	s_delay_alu instid0(VALU_DEP_4) | instskip(SKIP_1) | instid1(VALU_DEP_1)
	v_add_f64 v[108:109], v[108:109], v[110:111]
	v_fma_f64 v[110:111], v[197:198], s[10:11], -v[199:200]
	v_add_f64 v[110:111], v[110:111], v[112:113]
	v_fma_f64 v[112:113], v[201:202], s[16:17], v[203:204]
	s_delay_alu instid0(VALU_DEP_1) | instskip(SKIP_1) | instid1(VALU_DEP_1)
	v_add_f64 v[108:109], v[112:113], v[108:109]
	v_fma_f64 v[112:113], v[207:208], s[16:17], -v[209:210]
	v_add_f64 v[110:111], v[112:113], v[110:111]
	v_fma_f64 v[112:113], v[213:214], s[8:9], v[215:216]
	s_delay_alu instid0(VALU_DEP_1) | instskip(SKIP_1) | instid1(VALU_DEP_1)
	;; [unrolled: 5-line block ×3, first 2 shown]
	v_add_f64 v[108:109], v[112:113], v[108:109]
	v_fma_f64 v[112:113], v[231:232], s[2:3], -v[233:234]
	v_add_f64 v[110:111], v[112:113], v[110:111]
	v_fma_f64 v[112:113], v[193:194], s[8:9], -v[235:236]
	s_delay_alu instid0(VALU_DEP_1) | instskip(SKIP_1) | instid1(VALU_DEP_1)
	v_add_f64 v[112:113], v[112:113], v[114:115]
	v_fma_f64 v[114:115], v[197:198], s[8:9], v[237:238]
	v_add_f64 v[114:115], v[114:115], v[124:125]
	v_fma_f64 v[124:125], v[201:202], s[2:3], -v[239:240]
	s_delay_alu instid0(VALU_DEP_1) | instskip(SKIP_1) | instid1(VALU_DEP_1)
	v_add_f64 v[112:113], v[124:125], v[112:113]
	v_fma_f64 v[124:125], v[207:208], s[2:3], v[241:242]
	;; [unrolled: 5-line block ×5, first 2 shown]
	v_add_f64 v[126:127], v[126:127], v[128:129]
	v_fma_f64 v[128:129], v[201:202], s[10:11], -v[68:69]
	s_delay_alu instid0(VALU_DEP_1) | instskip(SKIP_1) | instid1(VALU_DEP_2)
	v_add_f64 v[124:125], v[128:129], v[124:125]
	v_fma_f64 v[128:129], v[207:208], s[10:11], v[70:71]
	v_add_f64 v[2:3], v[2:3], v[124:125]
	s_delay_alu instid0(VALU_DEP_2) | instskip(SKIP_1) | instid1(VALU_DEP_3)
	v_add_f64 v[126:127], v[128:129], v[126:127]
	v_mul_f64 v[128:129], v[138:139], s[34:35]
	v_add_f64 v[124:125], v[10:11], v[2:3]
	v_mul_f64 v[2:3], v[229:230], s[24:25]
	s_delay_alu instid0(VALU_DEP_4) | instskip(NEXT) | instid1(VALU_DEP_2)
	v_add_f64 v[6:7], v[6:7], v[126:127]
	v_fma_f64 v[10:11], v[231:232], s[8:9], v[2:3]
	v_fma_f64 v[2:3], v[231:232], s[8:9], -v[2:3]
	s_delay_alu instid0(VALU_DEP_2) | instskip(SKIP_1) | instid1(VALU_DEP_1)
	v_add_f64 v[126:127], v[10:11], v[6:7]
	v_mul_f64 v[6:7], v[136:137], s[34:35]
	v_fma_f64 v[10:11], v[193:194], s[16:17], -v[6:7]
	v_fma_f64 v[6:7], v[193:194], s[16:17], v[6:7]
	s_delay_alu instid0(VALU_DEP_2) | instskip(SKIP_1) | instid1(VALU_DEP_3)
	v_add_f64 v[10:11], v[10:11], v[130:131]
	v_fma_f64 v[130:131], v[197:198], s[16:17], v[128:129]
	v_add_f64 v[6:7], v[6:7], v[120:121]
	s_delay_alu instid0(VALU_DEP_3) | instskip(SKIP_1) | instid1(VALU_DEP_4)
	v_add_f64 v[10:11], v[14:15], v[10:11]
	v_mul_f64 v[14:15], v[205:206], s[26:27]
	v_add_f64 v[130:131], v[130:131], v[142:143]
	s_delay_alu instid0(VALU_DEP_4) | instskip(NEXT) | instid1(VALU_DEP_4)
	v_add_f64 v[6:7], v[12:13], v[6:7]
	v_add_f64 v[10:11], v[18:19], v[10:11]
	s_delay_alu instid0(VALU_DEP_4) | instskip(SKIP_3) | instid1(VALU_DEP_4)
	v_fma_f64 v[132:133], v[207:208], s[18:19], v[14:15]
	v_mul_f64 v[18:19], v[217:218], s[28:29]
	v_fma_f64 v[12:13], v[207:208], s[18:19], -v[14:15]
	v_fma_f64 v[14:15], v[213:214], s[2:3], v[16:17]
	v_add_f64 v[130:131], v[132:133], v[130:131]
	s_delay_alu instid0(VALU_DEP_4) | instskip(NEXT) | instid1(VALU_DEP_3)
	v_fma_f64 v[132:133], v[219:220], s[2:3], v[18:19]
	v_add_f64 v[6:7], v[14:15], v[6:7]
	v_fma_f64 v[14:15], v[219:220], s[2:3], -v[18:19]
	s_delay_alu instid0(VALU_DEP_3) | instskip(SKIP_2) | instid1(VALU_DEP_1)
	v_add_f64 v[130:131], v[132:133], v[130:131]
	v_add_f64 v[132:133], v[22:23], v[10:11]
	v_mul_f64 v[10:11], v[229:230], s[22:23]
	v_fma_f64 v[22:23], v[231:232], s[10:11], v[10:11]
	v_fma_f64 v[10:11], v[231:232], s[10:11], -v[10:11]
	s_delay_alu instid0(VALU_DEP_2) | instskip(SKIP_2) | instid1(VALU_DEP_2)
	v_add_f64 v[134:135], v[22:23], v[130:131]
	v_mul_f64 v[22:23], v[136:137], s[36:37]
	v_mul_f64 v[136:137], v[138:139], s[36:37]
	v_fma_f64 v[130:131], v[193:194], s[18:19], -v[22:23]
	v_fma_f64 v[22:23], v[193:194], s[18:19], v[22:23]
	s_delay_alu instid0(VALU_DEP_3) | instskip(NEXT) | instid1(VALU_DEP_3)
	v_fma_f64 v[138:139], v[197:198], s[18:19], v[136:137]
	v_add_f64 v[130:131], v[130:131], v[148:149]
	v_mul_f64 v[148:149], v[140:141], s[24:25]
	s_delay_alu instid0(VALU_DEP_4)
	v_add_f64 v[22:23], v[22:23], v[64:65]
	v_fma_f64 v[64:65], v[197:198], s[18:19], -v[136:137]
	v_add_f64 v[138:139], v[138:139], v[150:151]
	v_mul_f64 v[150:151], v[205:206], s[24:25]
	v_mul_f64 v[205:206], v[211:212], s[22:23]
	;; [unrolled: 1-line block ×5, first 2 shown]
	v_fma_f64 v[140:141], v[201:202], s[8:9], -v[148:149]
	v_add_f64 v[64:65], v[64:65], v[122:123]
	v_fma_f64 v[122:123], v[201:202], s[8:9], v[148:149]
	s_delay_alu instid0(VALU_DEP_3) | instskip(SKIP_1) | instid1(VALU_DEP_3)
	v_add_f64 v[130:131], v[140:141], v[130:131]
	v_fma_f64 v[140:141], v[207:208], s[8:9], v[150:151]
	v_add_f64 v[22:23], v[122:123], v[22:23]
	v_fma_f64 v[122:123], v[207:208], s[8:9], -v[150:151]
	s_delay_alu instid0(VALU_DEP_3) | instskip(SKIP_1) | instid1(VALU_DEP_3)
	v_add_f64 v[138:139], v[140:141], v[138:139]
	v_fma_f64 v[140:141], v[213:214], s[10:11], -v[205:206]
	v_add_f64 v[64:65], v[122:123], v[64:65]
	v_fma_f64 v[122:123], v[213:214], s[10:11], v[205:206]
	s_delay_alu instid0(VALU_DEP_3) | instskip(SKIP_1) | instid1(VALU_DEP_3)
	v_add_f64 v[130:131], v[140:141], v[130:131]
	v_fma_f64 v[140:141], v[219:220], s[10:11], v[211:212]
	v_add_f64 v[22:23], v[122:123], v[22:23]
	v_fma_f64 v[122:123], v[219:220], s[10:11], -v[211:212]
	s_delay_alu instid0(VALU_DEP_3) | instskip(SKIP_1) | instid1(VALU_DEP_3)
	v_add_f64 v[138:139], v[140:141], v[138:139]
	;; [unrolled: 10-line block ×3, first 2 shown]
	v_fma_f64 v[130:131], v[231:232], s[16:17], -v[223:224]
	v_add_f64 v[22:23], v[22:23], v[181:182]
	s_delay_alu instid0(VALU_DEP_2) | instskip(NEXT) | instid1(VALU_DEP_2)
	v_add_f64 v[138:139], v[130:131], v[64:65]
	v_add_f64 v[12:13], v[12:13], v[22:23]
	s_delay_alu instid0(VALU_DEP_1) | instskip(SKIP_1) | instid1(VALU_DEP_2)
	v_add_f64 v[12:13], v[14:15], v[12:13]
	v_fma_f64 v[14:15], v[225:226], s[10:11], v[20:21]
	v_add_f64 v[130:131], v[10:11], v[12:13]
	s_delay_alu instid0(VALU_DEP_2) | instskip(SKIP_3) | instid1(VALU_DEP_3)
	v_add_f64 v[128:129], v[14:15], v[6:7]
	v_fma_f64 v[6:7], v[193:194], s[2:3], v[251:252]
	v_fma_f64 v[10:11], v[197:198], s[2:3], -v[253:254]
	v_fma_f64 v[12:13], v[201:202], s[10:11], v[68:69]
	v_add_f64 v[6:7], v[6:7], v[118:119]
	s_delay_alu instid0(VALU_DEP_3) | instskip(NEXT) | instid1(VALU_DEP_2)
	v_add_f64 v[10:11], v[10:11], v[183:184]
	v_add_f64 v[6:7], v[12:13], v[6:7]
	v_fma_f64 v[12:13], v[207:208], s[10:11], -v[70:71]
	s_delay_alu instid0(VALU_DEP_2) | instskip(NEXT) | instid1(VALU_DEP_2)
	v_add_f64 v[0:1], v[0:1], v[6:7]
	v_add_f64 v[10:11], v[12:13], v[10:11]
	v_fma_f64 v[6:7], v[225:226], s[8:9], v[8:9]
	v_fma_f64 v[8:9], v[213:214], s[8:9], -v[215:216]
	s_delay_alu instid0(VALU_DEP_3) | instskip(NEXT) | instid1(VALU_DEP_3)
	v_add_f64 v[4:5], v[4:5], v[10:11]
	v_add_f64 v[120:121], v[6:7], v[0:1]
	v_fma_f64 v[0:1], v[193:194], s[8:9], v[235:236]
	v_fma_f64 v[6:7], v[231:232], s[18:19], -v[249:250]
	v_fma_f64 v[10:11], v[219:220], s[8:9], v[221:222]
	v_add_f64 v[122:123], v[2:3], v[4:5]
	v_fma_f64 v[2:3], v[197:198], s[8:9], -v[237:238]
	v_add_f64 v[0:1], v[0:1], v[116:117]
	v_fma_f64 v[4:5], v[201:202], s[2:3], v[239:240]
	s_delay_alu instid0(VALU_DEP_3) | instskip(NEXT) | instid1(VALU_DEP_2)
	v_add_f64 v[2:3], v[2:3], v[185:186]
	v_add_f64 v[0:1], v[4:5], v[0:1]
	v_fma_f64 v[4:5], v[207:208], s[2:3], -v[241:242]
	s_delay_alu instid0(VALU_DEP_1) | instskip(SKIP_1) | instid1(VALU_DEP_1)
	v_add_f64 v[2:3], v[4:5], v[2:3]
	v_fma_f64 v[4:5], v[213:214], s[16:17], v[243:244]
	v_add_f64 v[0:1], v[4:5], v[0:1]
	v_fma_f64 v[4:5], v[219:220], s[16:17], -v[245:246]
	s_delay_alu instid0(VALU_DEP_1) | instskip(SKIP_1) | instid1(VALU_DEP_2)
	v_add_f64 v[2:3], v[4:5], v[2:3]
	v_fma_f64 v[4:5], v[225:226], s[18:19], v[247:248]
	v_add_f64 v[118:119], v[6:7], v[2:3]
	s_delay_alu instid0(VALU_DEP_2) | instskip(SKIP_4) | instid1(VALU_DEP_4)
	v_add_f64 v[116:117], v[4:5], v[0:1]
	v_fma_f64 v[0:1], v[193:194], s[10:11], -v[195:196]
	v_fma_f64 v[4:5], v[201:202], s[16:17], -v[203:204]
	v_fma_f64 v[2:3], v[197:198], s[10:11], v[199:200]
	v_fma_f64 v[6:7], v[207:208], s[16:17], v[209:210]
	v_add_f64 v[0:1], v[0:1], v[191:192]
	s_delay_alu instid0(VALU_DEP_3) | instskip(NEXT) | instid1(VALU_DEP_2)
	v_add_f64 v[2:3], v[2:3], v[66:67]
	v_add_f64 v[0:1], v[4:5], v[0:1]
	v_fma_f64 v[4:5], v[225:226], s[2:3], -v[227:228]
	s_delay_alu instid0(VALU_DEP_3) | instskip(SKIP_1) | instid1(VALU_DEP_4)
	v_add_f64 v[2:3], v[6:7], v[2:3]
	v_fma_f64 v[6:7], v[231:232], s[2:3], v[233:234]
	v_add_f64 v[0:1], v[8:9], v[0:1]
	s_delay_alu instid0(VALU_DEP_3) | instskip(NEXT) | instid1(VALU_DEP_2)
	v_add_f64 v[2:3], v[10:11], v[2:3]
	v_add_f64 v[148:149], v[4:5], v[0:1]
	;; [unrolled: 1-line block ×3, first 2 shown]
	s_delay_alu instid0(VALU_DEP_3) | instskip(SKIP_1) | instid1(VALU_DEP_3)
	v_add_f64 v[150:151], v[6:7], v[2:3]
	v_add_f64 v[2:3], v[189:190], v[154:155]
	;; [unrolled: 1-line block ×3, first 2 shown]
	s_delay_alu instid0(VALU_DEP_2) | instskip(NEXT) | instid1(VALU_DEP_2)
	v_add_f64 v[2:3], v[2:3], v[163:164]
	v_add_f64 v[0:1], v[0:1], v[169:170]
	s_delay_alu instid0(VALU_DEP_2) | instskip(NEXT) | instid1(VALU_DEP_2)
	v_add_f64 v[2:3], v[2:3], v[171:172]
	v_add_f64 v[0:1], v[0:1], v[177:178]
	;; [unrolled: 3-line block ×7, first 2 shown]
	scratch_load_b32 v0, off, off offset:8  ; 4-byte Folded Reload
	v_add_f64 v[106:107], v[2:3], v[144:145]
	s_waitcnt vmcnt(0)
	v_lshl_add_u32 v68, v160, 4, v0
	ds_store_b128 v68, v[112:115] offset:2080
	ds_store_b128 v68, v[124:127] offset:3120
	;; [unrolled: 1-line block ×10, first 2 shown]
	ds_store_b128 v68, v[104:107]
	s_waitcnt lgkmcnt(0)
	s_barrier
	buffer_gl0_inv
	s_and_saveexec_b32 s2, vcc_lo
	s_cbranch_execz .LBB0_13
; %bb.12:
	scratch_load_b32 v0, off, off offset:4  ; 4-byte Folded Reload
	s_waitcnt vmcnt(0)
	v_add_co_u32 v64, s1, s14, v0
	s_delay_alu instid0(VALU_DEP_1) | instskip(NEXT) | instid1(VALU_DEP_2)
	v_add_co_ci_u32_e64 v65, null, s15, 0, s1
	v_add_co_u32 v0, s1, 0x2000, v64
	s_delay_alu instid0(VALU_DEP_1) | instskip(SKIP_2) | instid1(VALU_DEP_1)
	v_add_co_ci_u32_e64 v1, s1, 0, v65, s1
	global_load_b128 v[144:147], v[0:1], off offset:3248
	v_add_co_u32 v0, s1, 0x2cb0, v64
	v_add_co_ci_u32_e64 v1, s1, 0, v65, s1
	s_clause 0x3
	global_load_b128 v[152:155], v[0:1], off offset:880
	global_load_b128 v[156:159], v[0:1], off offset:1760
	;; [unrolled: 1-line block ×4, first 2 shown]
	v_add_co_u32 v0, s1, 0x3000, v64
	s_delay_alu instid0(VALU_DEP_1)
	v_add_co_ci_u32_e64 v1, s1, 0, v65, s1
	global_load_b128 v[169:172], v[0:1], off offset:3552
	ds_load_b128 v[173:176], v68
	ds_load_b128 v[177:180], v68 offset:880
	s_waitcnt vmcnt(5) lgkmcnt(1)
	v_mul_f64 v[0:1], v[175:176], v[146:147]
	v_mul_f64 v[2:3], v[173:174], v[146:147]
	s_waitcnt vmcnt(4) lgkmcnt(0)
	v_mul_f64 v[4:5], v[179:180], v[154:155]
	s_delay_alu instid0(VALU_DEP_3) | instskip(SKIP_1) | instid1(VALU_DEP_4)
	v_fma_f64 v[173:174], v[173:174], v[144:145], -v[0:1]
	v_mul_f64 v[0:1], v[177:178], v[154:155]
	v_fma_f64 v[175:176], v[175:176], v[144:145], v[2:3]
	ds_load_b128 v[144:147], v68 offset:1760
	v_fma_f64 v[177:178], v[177:178], v[152:153], -v[4:5]
	v_fma_f64 v[179:180], v[179:180], v[152:153], v[0:1]
	ds_load_b128 v[152:155], v68 offset:2640
	s_waitcnt vmcnt(3) lgkmcnt(1)
	v_mul_f64 v[0:1], v[146:147], v[158:159]
	v_mul_f64 v[2:3], v[144:145], v[158:159]
	s_waitcnt vmcnt(2) lgkmcnt(0)
	v_mul_f64 v[4:5], v[154:155], v[163:164]
	s_delay_alu instid0(VALU_DEP_3) | instskip(SKIP_1) | instid1(VALU_DEP_4)
	v_fma_f64 v[144:145], v[144:145], v[156:157], -v[0:1]
	v_mul_f64 v[0:1], v[152:153], v[163:164]
	v_fma_f64 v[146:147], v[146:147], v[156:157], v[2:3]
	ds_load_b128 v[156:159], v68 offset:3520
	v_fma_f64 v[152:153], v[152:153], v[161:162], -v[4:5]
	v_add_co_u32 v4, s1, 0x4000, v64
	s_delay_alu instid0(VALU_DEP_1)
	v_add_co_ci_u32_e64 v5, s1, 0, v65, s1
	v_fma_f64 v[154:155], v[154:155], v[161:162], v[0:1]
	ds_load_b128 v[161:164], v68 offset:4400
	s_waitcnt vmcnt(1) lgkmcnt(1)
	v_mul_f64 v[0:1], v[158:159], v[167:168]
	v_mul_f64 v[2:3], v[156:157], v[167:168]
	s_delay_alu instid0(VALU_DEP_2) | instskip(NEXT) | instid1(VALU_DEP_2)
	v_fma_f64 v[156:157], v[156:157], v[165:166], -v[0:1]
	v_fma_f64 v[158:159], v[158:159], v[165:166], v[2:3]
	s_waitcnt vmcnt(0) lgkmcnt(0)
	v_mul_f64 v[0:1], v[163:164], v[171:172]
	global_load_b128 v[165:168], v[4:5], off offset:336
	v_mul_f64 v[2:3], v[161:162], v[171:172]
	v_fma_f64 v[161:162], v[161:162], v[169:170], -v[0:1]
	s_delay_alu instid0(VALU_DEP_2)
	v_fma_f64 v[163:164], v[163:164], v[169:170], v[2:3]
	global_load_b128 v[169:172], v[4:5], off offset:1216
	ds_load_b128 v[181:184], v68 offset:5280
	ds_load_b128 v[185:188], v68 offset:6160
	s_waitcnt vmcnt(1) lgkmcnt(1)
	v_mul_f64 v[0:1], v[183:184], v[167:168]
	v_mul_f64 v[2:3], v[181:182], v[167:168]
	s_delay_alu instid0(VALU_DEP_2) | instskip(NEXT) | instid1(VALU_DEP_2)
	v_fma_f64 v[181:182], v[181:182], v[165:166], -v[0:1]
	v_fma_f64 v[183:184], v[183:184], v[165:166], v[2:3]
	s_waitcnt vmcnt(0) lgkmcnt(0)
	v_mul_f64 v[0:1], v[187:188], v[171:172]
	v_mul_f64 v[2:3], v[185:186], v[171:172]
	s_delay_alu instid0(VALU_DEP_2) | instskip(NEXT) | instid1(VALU_DEP_2)
	v_fma_f64 v[165:166], v[185:186], v[169:170], -v[0:1]
	v_fma_f64 v[167:168], v[187:188], v[169:170], v[2:3]
	s_clause 0x1
	global_load_b128 v[169:172], v[4:5], off offset:2096
	global_load_b128 v[185:188], v[4:5], off offset:2976
	ds_load_b128 v[189:192], v68 offset:7040
	ds_load_b128 v[193:196], v68 offset:7920
	s_waitcnt vmcnt(1) lgkmcnt(1)
	v_mul_f64 v[0:1], v[191:192], v[171:172]
	v_mul_f64 v[2:3], v[189:190], v[171:172]
	s_delay_alu instid0(VALU_DEP_2) | instskip(SKIP_2) | instid1(VALU_DEP_3)
	v_fma_f64 v[189:190], v[189:190], v[169:170], -v[0:1]
	s_waitcnt vmcnt(0) lgkmcnt(0)
	v_mul_f64 v[0:1], v[195:196], v[187:188]
	v_fma_f64 v[191:192], v[191:192], v[169:170], v[2:3]
	v_mul_f64 v[2:3], v[193:194], v[187:188]
	s_delay_alu instid0(VALU_DEP_3) | instskip(SKIP_1) | instid1(VALU_DEP_1)
	v_fma_f64 v[169:170], v[193:194], v[185:186], -v[0:1]
	v_add_co_u32 v0, s1, 0x5000, v64
	v_add_co_ci_u32_e64 v1, s1, 0, v65, s1
	s_delay_alu instid0(VALU_DEP_4)
	v_fma_f64 v[171:172], v[195:196], v[185:186], v[2:3]
	s_clause 0x1
	global_load_b128 v[64:67], v[4:5], off offset:3856
	global_load_b128 v[185:188], v[0:1], off offset:640
	ds_load_b128 v[193:196], v68 offset:8800
	ds_load_b128 v[197:200], v68 offset:9680
	s_waitcnt vmcnt(1) lgkmcnt(1)
	v_mul_f64 v[2:3], v[195:196], v[66:67]
	v_mul_f64 v[4:5], v[193:194], v[66:67]
	s_delay_alu instid0(VALU_DEP_2) | instskip(NEXT) | instid1(VALU_DEP_2)
	v_fma_f64 v[193:194], v[193:194], v[64:65], -v[2:3]
	v_fma_f64 v[195:196], v[195:196], v[64:65], v[4:5]
	s_waitcnt vmcnt(0) lgkmcnt(0)
	v_mul_f64 v[2:3], v[199:200], v[187:188]
	v_mul_f64 v[4:5], v[197:198], v[187:188]
	s_delay_alu instid0(VALU_DEP_2) | instskip(NEXT) | instid1(VALU_DEP_2)
	v_fma_f64 v[64:65], v[197:198], v[185:186], -v[2:3]
	v_fma_f64 v[66:67], v[199:200], v[185:186], v[4:5]
	global_load_b128 v[185:188], v[0:1], off offset:1520
	ds_load_b128 v[197:200], v68 offset:10560
	s_waitcnt vmcnt(0) lgkmcnt(0)
	v_mul_f64 v[0:1], v[199:200], v[187:188]
	v_mul_f64 v[2:3], v[197:198], v[187:188]
	s_delay_alu instid0(VALU_DEP_2) | instskip(NEXT) | instid1(VALU_DEP_2)
	v_fma_f64 v[197:198], v[197:198], v[185:186], -v[0:1]
	v_fma_f64 v[199:200], v[199:200], v[185:186], v[2:3]
	ds_store_b128 v68, v[173:176]
	ds_store_b128 v68, v[177:180] offset:880
	ds_store_b128 v68, v[144:147] offset:1760
	;; [unrolled: 1-line block ×12, first 2 shown]
.LBB0_13:
	s_or_b32 exec_lo, exec_lo, s2
	s_waitcnt lgkmcnt(0)
	s_barrier
	buffer_gl0_inv
	s_and_saveexec_b32 s1, vcc_lo
	s_cbranch_execz .LBB0_15
; %bb.14:
	ds_load_b128 v[104:107], v68
	ds_load_b128 v[148:151], v68 offset:880
	ds_load_b128 v[112:115], v68 offset:1760
	;; [unrolled: 1-line block ×12, first 2 shown]
.LBB0_15:
	s_or_b32 exec_lo, exec_lo, s1
	s_waitcnt lgkmcnt(0)
	v_add_f64 v[179:180], v[150:151], -v[98:99]
	s_mov_b32 s20, 0x4267c47c
	s_mov_b32 s21, 0xbfddbe06
	v_add_f64 v[177:178], v[148:149], v[96:97]
	v_add_f64 v[169:170], v[114:115], -v[102:103]
	s_mov_b32 s2, 0xe00740e9
	s_mov_b32 s10, 0x42a4c3d2
	;; [unrolled: 1-line block ×4, first 2 shown]
	v_add_f64 v[161:162], v[112:113], v[100:101]
	v_add_f64 v[231:232], v[150:151], v[98:99]
	s_mov_b32 s8, 0x1ea71119
	s_mov_b32 s9, 0x3fe22d96
	v_add_f64 v[227:228], v[148:149], -v[96:97]
	v_add_f64 v[175:176], v[114:115], v[102:103]
	v_add_f64 v[165:166], v[112:113], -v[100:101]
	v_add_f64 v[191:192], v[126:127], -v[110:111]
	s_mov_b32 s18, 0x66966769
	s_mov_b32 s19, 0xbfefc445
	v_add_f64 v[171:172], v[124:125], v[108:109]
	v_add_f64 v[193:194], v[126:127], v[110:111]
	s_mov_b32 s16, 0xebaa3ed8
	s_mov_b32 s17, 0x3fbedb7d
	v_add_f64 v[181:182], v[124:125], -v[108:109]
	v_add_f64 v[213:214], v[134:135], -v[118:119]
	s_mov_b32 s24, 0x2ef20147
	s_mov_b32 s25, 0xbfedeba7
	v_add_f64 v[185:186], v[132:133], v[116:117]
	v_add_f64 v[211:212], v[134:135], v[118:119]
	s_mov_b32 s22, 0xb2365da1
	s_mov_b32 s23, 0xbfd6b1d8
	v_add_f64 v[199:200], v[132:133], -v[116:117]
	v_add_f64 v[219:220], v[142:143], -v[122:123]
	s_mov_b32 s34, 0x24c2f84
	s_mov_b32 s35, 0x3fe5384d
	;; [unrolled: 1-line block ×4, first 2 shown]
	v_add_f64 v[195:196], v[140:141], v[120:121]
	v_mul_f64 v[16:17], v[179:180], s[20:21]
	v_add_f64 v[217:218], v[142:143], v[122:123]
	s_mov_b32 s26, 0xd0032e0c
	s_mov_b32 s27, 0xbfe7f3cc
	v_mul_f64 v[6:7], v[169:170], s[10:11]
	v_add_f64 v[207:208], v[140:141], -v[120:121]
	v_add_f64 v[223:224], v[138:139], -v[130:131]
	s_mov_b32 s37, 0xbfcea1e5
	s_mov_b32 s36, 0x4bc48dbf
	v_add_f64 v[203:204], v[136:137], v[128:129]
	v_mul_f64 v[22:23], v[231:232], s[2:3]
	v_add_f64 v[221:222], v[138:139], v[130:131]
	s_mov_b32 s30, 0x93053d00
	s_mov_b32 s31, 0xbfef11f4
	v_mul_f64 v[8:9], v[175:176], s[8:9]
	v_add_f64 v[225:226], v[136:137], -v[128:129]
	v_mul_f64 v[10:11], v[191:192], s[18:19]
	v_mul_f64 v[209:210], v[179:180], s[10:11]
	;; [unrolled: 1-line block ×9, first 2 shown]
	s_mov_b32 s41, 0x3fefc445
	s_mov_b32 s40, s18
	;; [unrolled: 1-line block ×3, first 2 shown]
	v_mul_f64 v[20:21], v[211:212], s[22:23]
	v_mul_f64 v[247:248], v[211:212], s[26:27]
	s_mov_b32 s38, s20
	v_mul_f64 v[64:65], v[179:180], s[18:19]
	v_mul_f64 v[18:19], v[219:220], s[28:29]
	v_mul_f64 v[243:244], v[219:220], s[40:41]
	v_mul_f64 v[241:242], v[169:170], s[36:37]
	v_mul_f64 v[66:67], v[231:232], s[16:17]
	v_mul_f64 v[163:164], v[175:176], s[30:31]
	s_mov_b32 s43, 0x3fedeba7
	v_fma_f64 v[0:1], v[177:178], s[2:3], -v[16:17]
	v_mul_f64 v[229:230], v[217:218], s[26:27]
	v_mul_f64 v[251:252], v[217:218], s[16:17]
	s_mov_b32 s42, s24
	v_fma_f64 v[2:3], v[161:162], s[8:9], -v[6:7]
	v_mul_f64 v[173:174], v[191:192], s[42:43]
	v_mul_f64 v[69:70], v[223:224], s[36:37]
	;; [unrolled: 1-line block ×9, first 2 shown]
	v_fma_f64 v[4:5], v[165:166], s[10:11], v[8:9]
	v_mul_f64 v[205:206], v[217:218], s[8:9]
	v_mul_f64 v[167:168], v[223:224], s[28:29]
	v_mul_f64 v[197:198], v[221:222], s[26:27]
	v_add_f64 v[0:1], v[104:105], v[0:1]
	s_delay_alu instid0(VALU_DEP_1) | instskip(SKIP_1) | instid1(VALU_DEP_1)
	v_add_f64 v[0:1], v[2:3], v[0:1]
	v_fma_f64 v[2:3], v[227:228], s[20:21], v[22:23]
	v_add_f64 v[2:3], v[106:107], v[2:3]
	s_delay_alu instid0(VALU_DEP_1) | instskip(SKIP_1) | instid1(VALU_DEP_1)
	v_add_f64 v[2:3], v[4:5], v[2:3]
	v_fma_f64 v[4:5], v[171:172], s[16:17], -v[10:11]
	v_add_f64 v[0:1], v[4:5], v[0:1]
	v_fma_f64 v[4:5], v[181:182], s[18:19], v[12:13]
	s_delay_alu instid0(VALU_DEP_1) | instskip(SKIP_1) | instid1(VALU_DEP_1)
	v_add_f64 v[2:3], v[4:5], v[2:3]
	v_fma_f64 v[4:5], v[185:186], s[22:23], -v[14:15]
	v_add_f64 v[0:1], v[4:5], v[0:1]
	v_fma_f64 v[4:5], v[199:200], s[24:25], v[20:21]
	;; [unrolled: 5-line block ×4, first 2 shown]
	v_fma_f64 v[4:5], v[165:166], s[24:25], v[239:240]
	s_delay_alu instid0(VALU_DEP_2) | instskip(SKIP_2) | instid1(VALU_DEP_2)
	v_add_f64 v[154:155], v[0:1], v[2:3]
	v_fma_f64 v[0:1], v[177:178], s[8:9], -v[209:210]
	v_fma_f64 v[2:3], v[161:162], s[22:23], -v[235:236]
	v_add_f64 v[0:1], v[104:105], v[0:1]
	s_delay_alu instid0(VALU_DEP_1) | instskip(SKIP_1) | instid1(VALU_DEP_1)
	v_add_f64 v[0:1], v[2:3], v[0:1]
	v_fma_f64 v[2:3], v[227:228], s[10:11], v[215:216]
	v_add_f64 v[2:3], v[106:107], v[2:3]
	s_delay_alu instid0(VALU_DEP_1) | instskip(SKIP_1) | instid1(VALU_DEP_1)
	v_add_f64 v[2:3], v[4:5], v[2:3]
	v_fma_f64 v[4:5], v[171:172], s[30:31], -v[237:238]
	v_add_f64 v[0:1], v[4:5], v[0:1]
	v_fma_f64 v[4:5], v[181:182], s[36:37], v[249:250]
	s_delay_alu instid0(VALU_DEP_1)
	v_add_f64 v[2:3], v[4:5], v[2:3]
	v_mul_f64 v[4:5], v[213:214], s[34:35]
	scratch_store_b64 off, v[4:5], off offset:164 ; 8-byte Folded Spill
	v_fma_f64 v[4:5], v[185:186], s[26:27], -v[4:5]
	s_waitcnt_vscnt null, 0x0
	s_barrier
	buffer_gl0_inv
	v_add_f64 v[0:1], v[4:5], v[0:1]
	v_fma_f64 v[4:5], v[199:200], s[34:35], v[247:248]
	s_delay_alu instid0(VALU_DEP_1) | instskip(SKIP_1) | instid1(VALU_DEP_1)
	v_add_f64 v[2:3], v[4:5], v[2:3]
	v_fma_f64 v[4:5], v[195:196], s[16:17], -v[243:244]
	v_add_f64 v[0:1], v[4:5], v[0:1]
	v_fma_f64 v[4:5], v[207:208], s[40:41], v[251:252]
	s_delay_alu instid0(VALU_DEP_1) | instskip(SKIP_1) | instid1(VALU_DEP_1)
	v_add_f64 v[2:3], v[4:5], v[2:3]
	v_fma_f64 v[4:5], v[203:204], s[2:3], -v[245:246]
	v_add_f64 v[156:157], v[4:5], v[0:1]
	v_fma_f64 v[0:1], v[225:226], s[38:39], v[253:254]
	v_fma_f64 v[4:5], v[165:166], s[36:37], v[163:164]
	s_delay_alu instid0(VALU_DEP_2) | instskip(SKIP_2) | instid1(VALU_DEP_2)
	v_add_f64 v[158:159], v[0:1], v[2:3]
	v_fma_f64 v[0:1], v[177:178], s[16:17], -v[64:65]
	v_fma_f64 v[2:3], v[161:162], s[30:31], -v[241:242]
	v_add_f64 v[0:1], v[104:105], v[0:1]
	s_delay_alu instid0(VALU_DEP_1) | instskip(SKIP_1) | instid1(VALU_DEP_1)
	v_add_f64 v[0:1], v[2:3], v[0:1]
	v_fma_f64 v[2:3], v[227:228], s[18:19], v[66:67]
	v_add_f64 v[2:3], v[106:107], v[2:3]
	s_delay_alu instid0(VALU_DEP_1) | instskip(SKIP_1) | instid1(VALU_DEP_1)
	v_add_f64 v[2:3], v[4:5], v[2:3]
	v_fma_f64 v[4:5], v[171:172], s[22:23], -v[173:174]
	v_add_f64 v[0:1], v[4:5], v[0:1]
	v_fma_f64 v[4:5], v[181:182], s[42:43], v[201:202]
	s_delay_alu instid0(VALU_DEP_1) | instskip(SKIP_1) | instid1(VALU_DEP_1)
	v_add_f64 v[2:3], v[4:5], v[2:3]
	v_fma_f64 v[4:5], v[185:186], s[2:3], -v[183:184]
	v_add_f64 v[0:1], v[4:5], v[0:1]
	v_fma_f64 v[4:5], v[199:200], s[38:39], v[189:190]
	;; [unrolled: 5-line block ×4, first 2 shown]
	s_delay_alu instid0(VALU_DEP_1)
	v_add_f64 v[146:147], v[0:1], v[2:3]
	s_and_saveexec_b32 s1, vcc_lo
	s_cbranch_execz .LBB0_17
; %bb.16:
	v_add_f64 v[0:1], v[106:107], v[150:151]
	v_add_f64 v[2:3], v[104:105], v[148:149]
	v_mul_f64 v[4:5], v[227:228], s[28:29]
	v_dual_mov_b32 v150, v241 :: v_dual_mov_b32 v151, v242
	v_dual_mov_b32 v242, v234 :: v_dual_mov_b32 v241, v233
	;; [unrolled: 1-line block ×3, first 2 shown]
	v_mul_f64 v[8:9], v[227:228], s[24:25]
	v_dual_mov_b32 v148, v239 :: v_dual_mov_b32 v149, v240
	v_dual_mov_b32 v240, v230 :: v_dual_mov_b32 v239, v229
	;; [unrolled: 1-line block ×3, first 2 shown]
	v_add_f64 v[0:1], v[0:1], v[114:115]
	v_add_f64 v[2:3], v[2:3], v[112:113]
	v_fma_f64 v[6:7], v[231:232], s[26:27], v[4:5]
	v_fma_f64 v[4:5], v[231:232], s[26:27], -v[4:5]
	v_mul_f64 v[112:113], v[207:208], s[24:25]
	v_mul_f64 v[114:115], v[219:220], s[24:25]
	v_add_f64 v[0:1], v[0:1], v[126:127]
	v_add_f64 v[2:3], v[2:3], v[124:125]
	;; [unrolled: 1-line block ×4, first 2 shown]
	s_delay_alu instid0(VALU_DEP_4) | instskip(NEXT) | instid1(VALU_DEP_4)
	v_add_f64 v[0:1], v[0:1], v[134:135]
	v_add_f64 v[2:3], v[2:3], v[132:133]
	v_mul_f64 v[134:135], v[207:208], s[38:39]
	s_delay_alu instid0(VALU_DEP_3) | instskip(NEXT) | instid1(VALU_DEP_3)
	v_add_f64 v[0:1], v[0:1], v[142:143]
	v_add_f64 v[2:3], v[2:3], v[140:141]
	v_dual_mov_b32 v142, v237 :: v_dual_mov_b32 v143, v238
	v_dual_mov_b32 v238, v15 :: v_dual_mov_b32 v237, v14
	v_mul_f64 v[14:15], v[177:178], s[16:17]
	v_dual_mov_b32 v140, v235 :: v_dual_mov_b32 v141, v236
	v_dual_mov_b32 v236, v11 :: v_dual_mov_b32 v235, v10
	v_fma_f64 v[10:11], v[231:232], s[22:23], v[8:9]
	v_fma_f64 v[8:9], v[231:232], s[22:23], -v[8:9]
	v_add_f64 v[0:1], v[0:1], v[138:139]
	v_add_f64 v[2:3], v[2:3], v[136:137]
	v_mul_f64 v[136:137], v[219:220], s[38:39]
	v_mul_f64 v[138:139], v[225:226], s[24:25]
	v_add_f64 v[14:15], v[14:15], v[64:65]
	v_mul_f64 v[64:65], v[179:180], s[28:29]
	v_add_f64 v[10:11], v[106:107], v[10:11]
	v_add_f64 v[8:9], v[106:107], v[8:9]
	;; [unrolled: 1-line block ×4, first 2 shown]
	v_mul_f64 v[130:131], v[225:226], s[36:37]
	v_add_f64 v[14:15], v[104:105], v[14:15]
	s_delay_alu instid0(VALU_DEP_4) | instskip(NEXT) | instid1(VALU_DEP_4)
	v_add_f64 v[0:1], v[0:1], v[122:123]
	v_add_f64 v[2:3], v[2:3], v[120:121]
	s_delay_alu instid0(VALU_DEP_2) | instskip(NEXT) | instid1(VALU_DEP_2)
	v_add_f64 v[0:1], v[0:1], v[118:119]
	v_add_f64 v[2:3], v[2:3], v[116:117]
	v_mul_f64 v[118:119], v[225:226], s[40:41]
	s_delay_alu instid0(VALU_DEP_3) | instskip(NEXT) | instid1(VALU_DEP_3)
	v_add_f64 v[0:1], v[0:1], v[110:111]
	v_add_f64 v[2:3], v[2:3], v[108:109]
	v_dual_mov_b32 v111, v17 :: v_dual_mov_b32 v110, v16
	v_mul_f64 v[16:17], v[227:228], s[10:11]
	v_mul_f64 v[108:109], v[177:178], s[2:3]
	v_add_f64 v[0:1], v[0:1], v[102:103]
	v_add_f64 v[2:3], v[2:3], v[100:101]
	v_fma_f64 v[100:101], v[177:178], s[26:27], -v[64:65]
	v_fma_f64 v[64:65], v[177:178], s[26:27], v[64:65]
	v_add_f64 v[16:17], v[215:216], -v[16:17]
	v_dual_mov_b32 v216, v19 :: v_dual_mov_b32 v215, v18
	v_mul_f64 v[18:19], v[177:178], s[8:9]
	v_add_f64 v[108:109], v[108:109], v[110:111]
	v_add_f64 v[98:99], v[0:1], v[98:99]
	v_mul_f64 v[0:1], v[227:228], s[36:37]
	v_add_f64 v[96:97], v[2:3], v[96:97]
	v_add_f64 v[110:111], v[104:105], v[100:101]
	;; [unrolled: 3-line block ×3, first 2 shown]
	v_add_f64 v[18:19], v[18:19], v[209:210]
	v_dual_mov_b32 v210, v21 :: v_dual_mov_b32 v209, v20
	v_mul_f64 v[20:21], v[227:228], s[20:21]
	v_add_f64 v[128:129], v[104:105], v[108:109]
	s_mov_b32 s21, 0x3fea55e2
	s_mov_b32 s20, s10
	s_delay_alu instid0(SALU_CYCLE_1)
	v_mul_f64 v[108:109], v[213:214], s[20:21]
	v_fma_f64 v[2:3], v[231:232], s[30:31], v[0:1]
	v_fma_f64 v[0:1], v[231:232], s[30:31], -v[0:1]
	v_dual_mov_b32 v232, v13 :: v_dual_mov_b32 v231, v12
	v_mul_f64 v[12:13], v[227:228], s[18:19]
	v_fma_f64 v[64:65], v[175:176], s[2:3], v[100:101]
	v_add_f64 v[18:19], v[104:105], v[18:19]
	v_fma_f64 v[100:101], v[175:176], s[2:3], -v[100:101]
	v_add_f64 v[20:21], v[22:23], -v[20:21]
	v_mul_f64 v[22:23], v[179:180], s[36:37]
	v_add_f64 v[2:3], v[106:107], v[2:3]
	v_add_f64 v[0:1], v[106:107], v[0:1]
	v_add_f64 v[12:13], v[66:67], -v[12:13]
	v_mul_f64 v[66:67], v[179:180], s[24:25]
	v_dual_mov_b32 v180, v70 :: v_dual_mov_b32 v179, v69
	v_add_f64 v[20:21], v[106:107], v[20:21]
	v_fma_f64 v[69:70], v[177:178], s[30:31], -v[22:23]
	v_fma_f64 v[22:23], v[177:178], s[30:31], v[22:23]
	v_add_f64 v[2:3], v[64:65], v[2:3]
	v_add_f64 v[0:1], v[100:101], v[0:1]
	;; [unrolled: 1-line block ×3, first 2 shown]
	v_fma_f64 v[102:103], v[177:178], s[22:23], -v[66:67]
	v_fma_f64 v[66:67], v[177:178], s[22:23], v[66:67]
	v_mul_f64 v[106:107], v[199:200], s[20:21]
	v_add_f64 v[69:70], v[104:105], v[69:70]
	v_add_f64 v[22:23], v[104:105], v[22:23]
	;; [unrolled: 1-line block ×3, first 2 shown]
	v_mul_f64 v[102:103], v[169:170], s[38:39]
	v_add_f64 v[116:117], v[104:105], v[66:67]
	v_mul_f64 v[104:105], v[191:192], s[28:29]
	s_delay_alu instid0(VALU_DEP_3) | instskip(SKIP_1) | instid1(VALU_DEP_2)
	v_fma_f64 v[64:65], v[161:162], s[2:3], -v[102:103]
	v_fma_f64 v[100:101], v[161:162], s[2:3], v[102:103]
	v_add_f64 v[64:65], v[64:65], v[69:70]
	v_mul_f64 v[69:70], v[181:182], s[28:29]
	s_delay_alu instid0(VALU_DEP_3) | instskip(NEXT) | instid1(VALU_DEP_2)
	v_add_f64 v[22:23], v[100:101], v[22:23]
	v_fma_f64 v[66:67], v[193:194], s[26:27], v[69:70]
	v_fma_f64 v[69:70], v[193:194], s[26:27], -v[69:70]
	s_delay_alu instid0(VALU_DEP_2) | instskip(SKIP_1) | instid1(VALU_DEP_3)
	v_add_f64 v[2:3], v[66:67], v[2:3]
	v_fma_f64 v[66:67], v[171:172], s[26:27], -v[104:105]
	v_add_f64 v[0:1], v[69:70], v[0:1]
	v_fma_f64 v[69:70], v[171:172], s[26:27], v[104:105]
	s_delay_alu instid0(VALU_DEP_3) | instskip(SKIP_1) | instid1(VALU_DEP_3)
	v_add_f64 v[64:65], v[66:67], v[64:65]
	v_fma_f64 v[66:67], v[211:212], s[8:9], v[106:107]
	v_add_f64 v[22:23], v[69:70], v[22:23]
	v_fma_f64 v[69:70], v[211:212], s[8:9], -v[106:107]
	s_delay_alu instid0(VALU_DEP_3) | instskip(SKIP_1) | instid1(VALU_DEP_3)
	v_add_f64 v[2:3], v[66:67], v[2:3]
	v_fma_f64 v[66:67], v[185:186], s[8:9], -v[108:109]
	v_add_f64 v[0:1], v[69:70], v[0:1]
	v_fma_f64 v[69:70], v[185:186], s[8:9], v[108:109]
	v_mul_f64 v[108:109], v[181:182], s[36:37]
	s_delay_alu instid0(VALU_DEP_4) | instskip(SKIP_1) | instid1(VALU_DEP_4)
	v_add_f64 v[64:65], v[66:67], v[64:65]
	v_fma_f64 v[66:67], v[217:218], s[22:23], v[112:113]
	v_add_f64 v[22:23], v[69:70], v[22:23]
	v_fma_f64 v[69:70], v[217:218], s[22:23], -v[112:113]
	v_mul_f64 v[112:113], v[165:166], s[36:37]
	s_mov_b32 s37, 0x3fcea1e5
	s_delay_alu instid0(SALU_CYCLE_1)
	v_mul_f64 v[126:127], v[199:200], s[36:37]
	v_mul_f64 v[132:133], v[213:214], s[36:37]
	v_add_f64 v[2:3], v[66:67], v[2:3]
	v_fma_f64 v[66:67], v[195:196], s[22:23], -v[114:115]
	v_add_f64 v[0:1], v[69:70], v[0:1]
	v_fma_f64 v[69:70], v[195:196], s[22:23], v[114:115]
	v_mul_f64 v[114:115], v[171:172], s[30:31]
	s_delay_alu instid0(VALU_DEP_4) | instskip(SKIP_1) | instid1(VALU_DEP_4)
	v_add_f64 v[64:65], v[66:67], v[64:65]
	v_fma_f64 v[66:67], v[221:222], s[16:17], v[118:119]
	v_add_f64 v[22:23], v[69:70], v[22:23]
	v_fma_f64 v[69:70], v[221:222], s[16:17], -v[118:119]
	v_add_f64 v[114:115], v[114:115], v[142:143]
	scratch_load_b64 v[142:143], off, off offset:164 ; 8-byte Folded Reload
	v_mul_f64 v[118:119], v[199:200], s[34:35]
	v_add_f64 v[66:67], v[66:67], v[2:3]
	v_mul_f64 v[2:3], v[223:224], s[40:41]
	v_add_f64 v[102:103], v[69:70], v[0:1]
	v_mul_f64 v[0:1], v[165:166], s[40:41]
	v_mul_f64 v[69:70], v[181:182], s[10:11]
	v_add_f64 v[118:119], v[247:248], -v[118:119]
	v_fma_f64 v[122:123], v[203:204], s[16:17], -v[2:3]
	v_fma_f64 v[2:3], v[203:204], s[16:17], v[2:3]
	s_delay_alu instid0(VALU_DEP_4) | instskip(NEXT) | instid1(VALU_DEP_3)
	v_fma_f64 v[104:105], v[193:194], s[8:9], v[69:70]
	v_add_f64 v[64:65], v[122:123], v[64:65]
	s_delay_alu instid0(VALU_DEP_3) | instskip(SKIP_3) | instid1(VALU_DEP_3)
	v_add_f64 v[100:101], v[2:3], v[22:23]
	v_fma_f64 v[2:3], v[175:176], s[16:17], v[0:1]
	v_mul_f64 v[122:123], v[191:192], s[10:11]
	v_fma_f64 v[0:1], v[175:176], s[16:17], -v[0:1]
	v_add_f64 v[2:3], v[2:3], v[6:7]
	v_mul_f64 v[6:7], v[169:170], s[40:41]
	s_delay_alu instid0(VALU_DEP_3) | instskip(NEXT) | instid1(VALU_DEP_3)
	v_add_f64 v[0:1], v[0:1], v[4:5]
	v_add_f64 v[2:3], v[104:105], v[2:3]
	s_delay_alu instid0(VALU_DEP_3) | instskip(SKIP_3) | instid1(VALU_DEP_4)
	v_fma_f64 v[22:23], v[161:162], s[16:17], -v[6:7]
	v_fma_f64 v[104:105], v[171:172], s[8:9], -v[122:123]
	v_fma_f64 v[4:5], v[161:162], s[16:17], v[6:7]
	v_fma_f64 v[6:7], v[193:194], s[8:9], -v[69:70]
	v_add_f64 v[22:23], v[22:23], v[110:111]
	v_mul_f64 v[110:111], v[161:162], s[22:23]
	s_delay_alu instid0(VALU_DEP_4) | instskip(NEXT) | instid1(VALU_DEP_4)
	v_add_f64 v[4:5], v[4:5], v[120:121]
	v_add_f64 v[0:1], v[6:7], v[0:1]
	v_fma_f64 v[6:7], v[171:172], s[8:9], v[122:123]
	v_add_f64 v[22:23], v[104:105], v[22:23]
	v_fma_f64 v[104:105], v[211:212], s[30:31], v[126:127]
	v_add_f64 v[110:111], v[110:111], v[140:141]
	v_mul_f64 v[140:141], v[185:186], s[26:27]
	v_add_f64 v[4:5], v[6:7], v[4:5]
	v_fma_f64 v[6:7], v[211:212], s[30:31], -v[126:127]
	v_add_f64 v[2:3], v[104:105], v[2:3]
	v_fma_f64 v[104:105], v[185:186], s[30:31], -v[132:133]
	v_add_f64 v[18:19], v[110:111], v[18:19]
	v_mul_f64 v[110:111], v[203:204], s[2:3]
	v_add_f64 v[0:1], v[6:7], v[0:1]
	v_fma_f64 v[6:7], v[185:186], s[30:31], v[132:133]
	s_waitcnt vmcnt(0)
	v_add_f64 v[140:141], v[140:141], v[142:143]
	v_mul_f64 v[142:143], v[207:208], s[40:41]
	v_add_f64 v[22:23], v[104:105], v[22:23]
	v_fma_f64 v[104:105], v[217:218], s[2:3], v[134:135]
	v_add_f64 v[18:19], v[114:115], v[18:19]
	v_add_f64 v[114:115], v[110:111], v[245:246]
	;; [unrolled: 1-line block ×3, first 2 shown]
	v_fma_f64 v[6:7], v[217:218], s[2:3], -v[134:135]
	v_add_f64 v[142:143], v[251:252], -v[142:143]
	v_add_f64 v[2:3], v[104:105], v[2:3]
	v_fma_f64 v[104:105], v[195:196], s[2:3], -v[136:137]
	v_add_f64 v[18:19], v[140:141], v[18:19]
	v_mul_f64 v[140:141], v[207:208], s[10:11]
	v_add_f64 v[0:1], v[6:7], v[0:1]
	v_fma_f64 v[6:7], v[195:196], s[2:3], v[136:137]
	v_add_f64 v[22:23], v[104:105], v[22:23]
	v_fma_f64 v[104:105], v[221:222], s[22:23], v[138:139]
	v_add_f64 v[140:141], v[205:206], -v[140:141]
	s_delay_alu instid0(VALU_DEP_4) | instskip(SKIP_1) | instid1(VALU_DEP_4)
	v_add_f64 v[4:5], v[6:7], v[4:5]
	v_fma_f64 v[6:7], v[221:222], s[22:23], -v[138:139]
	v_add_f64 v[106:107], v[104:105], v[2:3]
	v_mul_f64 v[2:3], v[223:224], s[24:25]
	s_delay_alu instid0(VALU_DEP_3) | instskip(NEXT) | instid1(VALU_DEP_2)
	v_add_f64 v[122:123], v[6:7], v[0:1]
	v_fma_f64 v[104:105], v[203:204], s[22:23], -v[2:3]
	v_fma_f64 v[2:3], v[203:204], s[22:23], v[2:3]
	s_delay_alu instid0(VALU_DEP_2) | instskip(SKIP_2) | instid1(VALU_DEP_4)
	v_add_f64 v[104:105], v[104:105], v[22:23]
	v_add_f64 v[22:23], v[249:250], -v[108:109]
	v_mul_f64 v[108:109], v[165:166], s[24:25]
	v_add_f64 v[120:121], v[2:3], v[4:5]
	s_delay_alu instid0(VALU_DEP_2) | instskip(SKIP_1) | instid1(VALU_DEP_2)
	v_add_f64 v[108:109], v[148:149], -v[108:109]
	v_mul_f64 v[148:149], v[207:208], s[36:37]
	v_add_f64 v[16:17], v[108:109], v[16:17]
	v_mul_f64 v[108:109], v[195:196], s[16:17]
	s_delay_alu instid0(VALU_DEP_3) | instskip(NEXT) | instid1(VALU_DEP_3)
	v_fma_f64 v[6:7], v[217:218], s[30:31], v[148:149]
	v_add_f64 v[16:17], v[22:23], v[16:17]
	s_delay_alu instid0(VALU_DEP_3) | instskip(SKIP_1) | instid1(VALU_DEP_3)
	v_add_f64 v[108:109], v[108:109], v[243:244]
	v_mul_f64 v[22:23], v[225:226], s[38:39]
	v_add_f64 v[16:17], v[118:119], v[16:17]
	s_delay_alu instid0(VALU_DEP_3) | instskip(NEXT) | instid1(VALU_DEP_3)
	v_add_f64 v[18:19], v[108:109], v[18:19]
	v_add_f64 v[22:23], v[253:254], -v[22:23]
	v_mul_f64 v[118:119], v[185:186], s[2:3]
	s_delay_alu instid0(VALU_DEP_4) | instskip(NEXT) | instid1(VALU_DEP_4)
	v_add_f64 v[16:17], v[142:143], v[16:17]
	v_add_f64 v[108:109], v[114:115], v[18:19]
	v_add_f64 v[18:19], v[163:164], -v[112:113]
	v_mul_f64 v[112:113], v[161:162], s[30:31]
	v_mul_f64 v[114:115], v[199:200], s[38:39]
	v_add_f64 v[118:119], v[118:119], v[183:184]
	v_mul_f64 v[142:143], v[213:214], s[18:19]
	v_mul_f64 v[163:164], v[225:226], s[20:21]
	v_add_f64 v[110:111], v[22:23], v[16:17]
	;; [unrolled: 3-line block ×3, first 2 shown]
	v_add_f64 v[12:13], v[18:19], v[12:13]
	v_add_f64 v[114:115], v[189:190], -v[114:115]
	v_mul_f64 v[18:19], v[195:196], s[8:9]
	v_mul_f64 v[150:151], v[219:220], s[36:37]
	v_add_f64 v[16:17], v[201:202], -v[16:17]
	v_add_f64 v[22:23], v[22:23], v[173:174]
	v_add_f64 v[14:15], v[112:113], v[14:15]
	;; [unrolled: 1-line block ×3, first 2 shown]
	s_delay_alu instid0(VALU_DEP_4) | instskip(SKIP_1) | instid1(VALU_DEP_4)
	v_add_f64 v[12:13], v[16:17], v[12:13]
	v_mul_f64 v[16:17], v[225:226], s[28:29]
	v_add_f64 v[14:15], v[22:23], v[14:15]
	v_mul_f64 v[22:23], v[203:204], s[26:27]
	s_delay_alu instid0(VALU_DEP_4) | instskip(NEXT) | instid1(VALU_DEP_4)
	v_add_f64 v[12:13], v[114:115], v[12:13]
	v_add_f64 v[16:17], v[197:198], -v[16:17]
	s_delay_alu instid0(VALU_DEP_4) | instskip(NEXT) | instid1(VALU_DEP_4)
	v_add_f64 v[14:15], v[118:119], v[14:15]
	v_add_f64 v[22:23], v[22:23], v[167:168]
	v_mul_f64 v[167:168], v[223:224], s[20:21]
	v_add_f64 v[12:13], v[140:141], v[12:13]
	v_mul_f64 v[140:141], v[199:200], s[18:19]
	;; [unrolled: 2-line block ×3, first 2 shown]
	s_delay_alu instid0(VALU_DEP_4) | instskip(SKIP_1) | instid1(VALU_DEP_4)
	v_add_f64 v[114:115], v[16:17], v[12:13]
	v_mul_f64 v[12:13], v[165:166], s[34:35]
	v_add_f64 v[112:113], v[22:23], v[14:15]
	s_delay_alu instid0(VALU_DEP_4)
	v_fma_f64 v[22:23], v[193:194], s[2:3], -v[18:19]
	v_fma_f64 v[2:3], v[193:194], s[2:3], v[18:19]
	v_fma_f64 v[4:5], v[211:212], s[16:17], v[140:141]
	v_fma_f64 v[14:15], v[175:176], s[26:27], -v[12:13]
	v_fma_f64 v[0:1], v[175:176], s[26:27], v[12:13]
	v_mul_f64 v[12:13], v[207:208], s[28:29]
	s_delay_alu instid0(VALU_DEP_3) | instskip(SKIP_1) | instid1(VALU_DEP_4)
	v_add_f64 v[8:9], v[14:15], v[8:9]
	v_mul_f64 v[14:15], v[169:170], s[34:35]
	v_add_f64 v[0:1], v[0:1], v[10:11]
	s_delay_alu instid0(VALU_DEP_4) | instskip(NEXT) | instid1(VALU_DEP_4)
	v_add_f64 v[12:13], v[239:240], -v[12:13]
	v_add_f64 v[8:9], v[22:23], v[8:9]
	s_delay_alu instid0(VALU_DEP_4) | instskip(SKIP_3) | instid1(VALU_DEP_4)
	v_fma_f64 v[16:17], v[161:162], s[26:27], v[14:15]
	v_mul_f64 v[22:23], v[191:192], s[38:39]
	v_fma_f64 v[10:11], v[161:162], s[26:27], -v[14:15]
	v_add_f64 v[0:1], v[2:3], v[0:1]
	v_add_f64 v[16:17], v[16:17], v[116:117]
	s_delay_alu instid0(VALU_DEP_4) | instskip(NEXT) | instid1(VALU_DEP_4)
	v_fma_f64 v[116:117], v[171:172], s[2:3], v[22:23]
	v_add_f64 v[10:11], v[10:11], v[124:125]
	v_fma_f64 v[2:3], v[171:172], s[2:3], -v[22:23]
	v_add_f64 v[0:1], v[4:5], v[0:1]
	v_fma_f64 v[4:5], v[185:186], s[16:17], -v[142:143]
	;; [unrolled: 2-line block ×3, first 2 shown]
	v_add_f64 v[2:3], v[2:3], v[10:11]
	v_add_f64 v[0:1], v[6:7], v[0:1]
	v_mul_f64 v[6:7], v[171:172], s[16:17]
	v_mul_f64 v[10:11], v[185:186], s[22:23]
	v_add_f64 v[8:9], v[116:117], v[8:9]
	v_fma_f64 v[116:117], v[185:186], s[16:17], v[142:143]
	v_add_f64 v[2:3], v[4:5], v[2:3]
	v_fma_f64 v[4:5], v[195:196], s[30:31], -v[150:151]
	v_add_f64 v[6:7], v[6:7], v[235:236]
	v_add_f64 v[10:11], v[10:11], v[237:238]
	;; [unrolled: 1-line block ×3, first 2 shown]
	v_fma_f64 v[116:117], v[217:218], s[30:31], -v[148:149]
	v_add_f64 v[2:3], v[4:5], v[2:3]
	v_fma_f64 v[4:5], v[203:204], s[8:9], -v[167:168]
	s_delay_alu instid0(VALU_DEP_3) | instskip(SKIP_1) | instid1(VALU_DEP_3)
	v_add_f64 v[8:9], v[116:117], v[8:9]
	v_fma_f64 v[116:117], v[195:196], s[30:31], v[150:151]
	v_add_f64 v[124:125], v[4:5], v[2:3]
	v_mul_f64 v[4:5], v[181:182], s[18:19]
	v_mul_f64 v[2:3], v[161:162], s[8:9]
	s_delay_alu instid0(VALU_DEP_4) | instskip(SKIP_1) | instid1(VALU_DEP_4)
	v_add_f64 v[16:17], v[116:117], v[16:17]
	v_fma_f64 v[116:117], v[221:222], s[8:9], -v[163:164]
	v_add_f64 v[4:5], v[231:232], -v[4:5]
	s_delay_alu instid0(VALU_DEP_4) | instskip(NEXT) | instid1(VALU_DEP_3)
	v_add_f64 v[2:3], v[2:3], v[229:230]
	v_add_f64 v[118:119], v[116:117], v[8:9]
	v_fma_f64 v[8:9], v[203:204], s[8:9], v[167:168]
	s_delay_alu instid0(VALU_DEP_3) | instskip(NEXT) | instid1(VALU_DEP_2)
	v_add_f64 v[2:3], v[2:3], v[128:129]
	v_add_f64 v[116:117], v[8:9], v[16:17]
	v_fma_f64 v[8:9], v[221:222], s[8:9], v[163:164]
	s_delay_alu instid0(VALU_DEP_3) | instskip(SKIP_1) | instid1(VALU_DEP_3)
	v_add_f64 v[2:3], v[6:7], v[2:3]
	v_add_f64 v[6:7], v[241:242], -v[130:131]
	v_add_f64 v[126:127], v[8:9], v[0:1]
	v_mul_f64 v[0:1], v[165:166], s[10:11]
	v_mul_f64 v[8:9], v[199:200], s[24:25]
	v_add_f64 v[2:3], v[10:11], v[2:3]
	s_delay_alu instid0(VALU_DEP_3) | instskip(NEXT) | instid1(VALU_DEP_3)
	v_add_f64 v[0:1], v[233:234], -v[0:1]
	v_add_f64 v[8:9], v[209:210], -v[8:9]
	s_delay_alu instid0(VALU_DEP_2) | instskip(NEXT) | instid1(VALU_DEP_1)
	v_add_f64 v[0:1], v[0:1], v[20:21]
	v_add_f64 v[0:1], v[4:5], v[0:1]
	v_mul_f64 v[4:5], v[195:196], s[26:27]
	s_delay_alu instid0(VALU_DEP_2) | instskip(NEXT) | instid1(VALU_DEP_2)
	v_add_f64 v[0:1], v[8:9], v[0:1]
	v_add_f64 v[4:5], v[4:5], v[215:216]
	v_mul_f64 v[8:9], v[203:204], s[30:31]
	s_delay_alu instid0(VALU_DEP_3) | instskip(NEXT) | instid1(VALU_DEP_3)
	v_add_f64 v[0:1], v[12:13], v[0:1]
	v_add_f64 v[2:3], v[4:5], v[2:3]
	s_delay_alu instid0(VALU_DEP_3) | instskip(NEXT) | instid1(VALU_DEP_3)
	v_add_f64 v[8:9], v[8:9], v[179:180]
	v_add_f64 v[130:131], v[6:7], v[0:1]
	s_clause 0x1
	scratch_load_b32 v0, off, off offset:52
	scratch_load_b32 v1, off, off offset:8
	v_add_f64 v[128:129], v[8:9], v[2:3]
	s_waitcnt vmcnt(1)
	v_and_b32_e32 v0, 0xffff, v0
	s_waitcnt vmcnt(0)
	s_delay_alu instid0(VALU_DEP_1)
	v_lshl_add_u32 v0, v0, 4, v1
	ds_store_b128 v0, v[108:111] offset:32
	ds_store_b128 v0, v[112:115] offset:48
	;; [unrolled: 1-line block ×11, first 2 shown]
	ds_store_b128 v0, v[96:99]
	ds_store_b128 v0, v[152:155] offset:192
.LBB0_17:
	s_or_b32 exec_lo, exec_lo, s1
	s_waitcnt lgkmcnt(0)
	s_barrier
	buffer_gl0_inv
	ds_load_b128 v[100:103], v255
	ds_load_b128 v[96:99], v255 offset:1040
	ds_load_b128 v[120:123], v255 offset:2288
	;; [unrolled: 1-line block ×9, first 2 shown]
	s_and_saveexec_b32 s1, s0
	s_cbranch_execz .LBB0_19
; %bb.18:
	ds_load_b128 v[144:147], v255 offset:2080
	ds_load_b128 v[156:159], v255 offset:4368
	;; [unrolled: 1-line block ×4, first 2 shown]
	s_waitcnt lgkmcnt(0)
	scratch_store_b128 off, v[0:3], off offset:12 ; 16-byte Folded Spill
	ds_load_b128 v[0:3], v255 offset:11232
	s_waitcnt lgkmcnt(0)
	scratch_store_b128 off, v[0:3], off offset:28 ; 16-byte Folded Spill
.LBB0_19:
	s_or_b32 exec_lo, exec_lo, s1
	s_clause 0x1
	scratch_load_b128 v[136:139], off, off offset:72
	scratch_load_b128 v[64:67], off, off offset:56
	s_waitcnt lgkmcnt(7)
	v_mul_f64 v[0:1], v[42:43], v[122:123]
	s_waitcnt lgkmcnt(5)
	v_mul_f64 v[2:3], v[34:35], v[126:127]
	;; [unrolled: 2-line block ×4, first 2 shown]
	v_mul_f64 v[6:7], v[42:43], v[120:121]
	v_mul_f64 v[10:11], v[34:35], v[124:125]
	;; [unrolled: 1-line block ×8, first 2 shown]
	s_mov_b32 s2, 0x134454ff
	s_mov_b32 s3, 0xbfee6f0e
	;; [unrolled: 1-line block ×10, first 2 shown]
	s_waitcnt vmcnt(0) lgkmcnt(0)
	s_waitcnt_vscnt null, 0x0
	s_barrier
	buffer_gl0_inv
	v_fma_f64 v[0:1], v[40:41], v[120:121], v[0:1]
	v_fma_f64 v[2:3], v[32:33], v[124:125], v[2:3]
	;; [unrolled: 1-line block ×4, first 2 shown]
	v_fma_f64 v[6:7], v[40:41], v[122:123], -v[6:7]
	v_fma_f64 v[10:11], v[32:33], v[126:127], -v[10:11]
	;; [unrolled: 1-line block ×4, first 2 shown]
	v_fma_f64 v[20:21], v[24:25], v[112:113], v[20:21]
	v_fma_f64 v[22:23], v[44:45], v[106:107], -v[22:23]
	v_fma_f64 v[24:25], v[24:25], v[114:115], -v[26:27]
	v_fma_f64 v[16:17], v[44:45], v[104:105], v[16:17]
	v_add_f64 v[32:33], v[2:3], v[4:5]
	v_add_f64 v[104:105], v[102:103], v[6:7]
	v_add_f64 v[120:121], v[6:7], -v[10:11]
	v_add_f64 v[36:37], v[10:11], v[12:13]
	v_add_f64 v[69:70], v[10:11], -v[12:13]
	v_add_f64 v[122:123], v[14:15], -v[12:13]
	;; [unrolled: 1-line block ×3, first 2 shown]
	v_add_f64 v[106:107], v[96:97], v[16:17]
	v_fma_f64 v[32:33], v[32:33], -0.5, v[100:101]
	v_fma_f64 v[36:37], v[36:37], -0.5, v[102:103]
	v_mul_f64 v[34:35], v[138:139], v[108:109]
	v_mul_f64 v[30:31], v[66:67], v[118:119]
	;; [unrolled: 1-line block ×4, first 2 shown]
	v_add_f64 v[66:67], v[6:7], -v[14:15]
	s_delay_alu instid0(VALU_DEP_4)
	v_fma_f64 v[28:29], v[64:65], v[116:117], v[30:31]
	v_fma_f64 v[30:31], v[136:137], v[110:111], -v[34:35]
	v_fma_f64 v[26:27], v[64:65], v[118:119], -v[38:39]
	v_add_f64 v[34:35], v[0:1], v[8:9]
	v_fma_f64 v[18:19], v[136:137], v[108:109], v[18:19]
	v_add_f64 v[38:39], v[6:7], v[14:15]
	v_add_f64 v[64:65], v[100:101], v[0:1]
	;; [unrolled: 1-line block ×3, first 2 shown]
	v_add_f64 v[110:111], v[0:1], -v[8:9]
	v_add_f64 v[118:119], v[4:5], -v[8:9]
	;; [unrolled: 1-line block ×3, first 2 shown]
	v_add_f64 v[10:11], v[104:105], v[10:11]
	v_add_f64 v[116:117], v[8:9], -v[4:5]
	v_add_f64 v[42:43], v[16:17], v[28:29]
	v_add_f64 v[44:45], v[30:31], v[24:25]
	;; [unrolled: 1-line block ×3, first 2 shown]
	v_fma_f64 v[34:35], v[34:35], -0.5, v[100:101]
	v_add_f64 v[40:41], v[18:19], v[20:21]
	v_add_f64 v[100:101], v[2:3], -v[4:5]
	v_add_f64 v[112:113], v[22:23], -v[26:27]
	v_fma_f64 v[38:39], v[38:39], -0.5, v[102:103]
	v_add_f64 v[102:103], v[30:31], -v[24:25]
	v_add_f64 v[132:133], v[22:23], -v[30:31]
	;; [unrolled: 1-line block ×3, first 2 shown]
	v_add_f64 v[30:31], v[108:109], v[30:31]
	v_add_f64 v[114:115], v[16:17], -v[28:29]
	v_add_f64 v[126:127], v[16:17], -v[18:19]
	;; [unrolled: 1-line block ×6, first 2 shown]
	v_add_f64 v[6:7], v[6:7], v[124:125]
	v_add_f64 v[128:129], v[28:29], -v[20:21]
	v_fma_f64 v[42:43], v[42:43], -0.5, v[96:97]
	v_fma_f64 v[44:45], v[44:45], -0.5, v[98:99]
	;; [unrolled: 1-line block ×3, first 2 shown]
	v_add_f64 v[98:99], v[0:1], -v[2:3]
	v_add_f64 v[0:1], v[2:3], -v[0:1]
	v_add_f64 v[2:3], v[64:65], v[2:3]
	v_fma_f64 v[64:65], v[66:67], s[2:3], v[32:33]
	v_fma_f64 v[32:33], v[66:67], s[8:9], v[32:33]
	;; [unrolled: 1-line block ×4, first 2 shown]
	v_fma_f64 v[40:41], v[40:41], -0.5, v[96:97]
	v_add_f64 v[96:97], v[18:19], -v[20:21]
	v_add_f64 v[18:19], v[106:107], v[18:19]
	v_fma_f64 v[106:107], v[110:111], s[8:9], v[36:37]
	v_fma_f64 v[36:37], v[110:111], s[2:3], v[36:37]
	;; [unrolled: 1-line block ×4, first 2 shown]
	v_add_f64 v[124:125], v[22:23], v[136:137]
	v_fma_f64 v[140:141], v[102:103], s[8:9], v[42:43]
	v_fma_f64 v[42:43], v[102:103], s[2:3], v[42:43]
	;; [unrolled: 1-line block ×3, first 2 shown]
	v_add_f64 v[98:99], v[98:99], v[116:117]
	v_add_f64 v[0:1], v[0:1], v[118:119]
	;; [unrolled: 1-line block ×5, first 2 shown]
	v_fma_f64 v[30:31], v[69:70], s[10:11], v[32:33]
	v_fma_f64 v[32:33], v[66:67], s[16:17], v[104:105]
	;; [unrolled: 1-line block ×3, first 2 shown]
	v_add_f64 v[116:117], v[120:121], v[122:123]
	v_fma_f64 v[24:25], v[69:70], s[16:17], v[64:65]
	v_fma_f64 v[64:65], v[100:101], s[10:11], v[106:107]
	;; [unrolled: 1-line block ×5, first 2 shown]
	v_add_f64 v[10:11], v[18:19], v[20:21]
	v_add_f64 v[120:121], v[16:17], v[130:131]
	v_fma_f64 v[138:139], v[112:113], s[2:3], v[40:41]
	v_fma_f64 v[148:149], v[96:97], s[2:3], v[46:47]
	;; [unrolled: 1-line block ×5, first 2 shown]
	v_add_f64 v[118:119], v[126:127], v[128:129]
	v_add_f64 v[122:123], v[132:133], v[134:135]
	v_fma_f64 v[104:105], v[112:113], s[16:17], v[140:141]
	v_fma_f64 v[42:43], v[112:113], s[10:11], v[42:43]
	;; [unrolled: 1-line block ×3, first 2 shown]
	v_add_f64 v[16:17], v[2:3], v[8:9]
	v_add_f64 v[18:19], v[4:5], v[14:15]
	;; [unrolled: 1-line block ×3, first 2 shown]
	v_fma_f64 v[32:33], v[0:1], s[18:19], v[32:33]
	v_fma_f64 v[36:37], v[0:1], s[18:19], v[34:35]
	scratch_load_b32 v0, off, off offset:96 ; 4-byte Folded Reload
	v_fma_f64 v[24:25], v[98:99], s[18:19], v[24:25]
	v_fma_f64 v[26:27], v[116:117], s[18:19], v[64:65]
	;; [unrolled: 1-line block ×4, first 2 shown]
	v_add_f64 v[20:21], v[10:11], v[28:29]
	v_fma_f64 v[28:29], v[98:99], s[18:19], v[30:31]
	v_fma_f64 v[30:31], v[116:117], s[18:19], v[66:67]
	;; [unrolled: 1-line block ×7, first 2 shown]
	s_waitcnt vmcnt(0)
	ds_store_b128 v0, v[16:19]
	ds_store_b128 v0, v[24:27] offset:208
	ds_store_b128 v0, v[32:35] offset:416
	;; [unrolled: 1-line block ×4, first 2 shown]
	scratch_load_b32 v0, off, off offset:92 ; 4-byte Folded Reload
	v_fma_f64 v[40:41], v[118:119], s[18:19], v[100:101]
	v_fma_f64 v[96:97], v[120:121], s[18:19], v[42:43]
	v_fma_f64 v[42:43], v[122:123], s[18:19], v[106:107]
	v_fma_f64 v[64:65], v[120:121], s[18:19], v[104:105]
	v_fma_f64 v[66:67], v[124:125], s[18:19], v[108:109]
	v_fma_f64 v[98:99], v[124:125], s[18:19], v[46:47]
	v_fma_f64 v[44:45], v[118:119], s[18:19], v[102:103]
	v_fma_f64 v[46:47], v[122:123], s[18:19], v[110:111]
	s_waitcnt vmcnt(0)
	ds_store_b128 v0, v[20:23]
	ds_store_b128 v0, v[40:43] offset:208
	ds_store_b128 v0, v[64:67] offset:416
	;; [unrolled: 1-line block ×4, first 2 shown]
	s_and_saveexec_b32 s1, s0
	s_cbranch_execz .LBB0_21
; %bb.20:
	s_clause 0x5
	scratch_load_b128 v[20:23], off, off offset:116
	scratch_load_b128 v[28:31], off, off offset:148
	;; [unrolled: 1-line block ×6, first 2 shown]
	s_waitcnt vmcnt(5)
	v_mul_f64 v[0:1], v[22:23], v[152:153]
	s_waitcnt vmcnt(4)
	v_mul_f64 v[2:3], v[30:31], v[156:157]
	;; [unrolled: 2-line block ×4, first 2 shown]
	v_mul_f64 v[8:9], v[22:23], v[154:155]
	v_mul_f64 v[10:11], v[18:19], v[34:35]
	v_mul_f64 v[12:13], v[30:31], v[158:159]
	v_mul_f64 v[14:15], v[26:27], v[38:39]
	v_fma_f64 v[0:1], v[20:21], v[154:155], -v[0:1]
	v_fma_f64 v[2:3], v[28:29], v[158:159], -v[2:3]
	;; [unrolled: 1-line block ×4, first 2 shown]
	v_fma_f64 v[8:9], v[20:21], v[152:153], v[8:9]
	v_fma_f64 v[10:11], v[16:17], v[32:33], v[10:11]
	;; [unrolled: 1-line block ×4, first 2 shown]
	v_add_f64 v[28:29], v[146:147], v[2:3]
	v_add_f64 v[16:17], v[2:3], v[4:5]
	;; [unrolled: 1-line block ×3, first 2 shown]
	v_add_f64 v[32:33], v[2:3], -v[4:5]
	v_add_f64 v[20:21], v[8:9], v[10:11]
	v_add_f64 v[24:25], v[8:9], -v[10:11]
	v_add_f64 v[26:27], v[12:13], -v[14:15]
	v_add_f64 v[30:31], v[144:145], v[12:13]
	v_add_f64 v[22:23], v[12:13], v[14:15]
	v_add_f64 v[34:35], v[0:1], -v[6:7]
	v_add_f64 v[36:37], v[0:1], -v[2:3]
	;; [unrolled: 1-line block ×9, first 2 shown]
	v_add_f64 v[0:1], v[28:29], v[0:1]
	v_fma_f64 v[16:17], v[16:17], -0.5, v[146:147]
	v_fma_f64 v[18:19], v[18:19], -0.5, v[146:147]
	v_fma_f64 v[20:21], v[20:21], -0.5, v[144:145]
	v_add_f64 v[8:9], v[30:31], v[8:9]
	v_fma_f64 v[22:23], v[22:23], -0.5, v[144:145]
	v_add_f64 v[36:37], v[36:37], v[38:39]
	v_add_f64 v[38:39], v[2:3], v[40:41]
	;; [unrolled: 1-line block ×5, first 2 shown]
	v_fma_f64 v[28:29], v[24:25], s[8:9], v[16:17]
	v_fma_f64 v[16:17], v[24:25], s[2:3], v[16:17]
	;; [unrolled: 1-line block ×6, first 2 shown]
	v_add_f64 v[6:7], v[8:9], v[10:11]
	v_fma_f64 v[66:67], v[34:35], s[8:9], v[22:23]
	v_fma_f64 v[22:23], v[34:35], s[2:3], v[22:23]
	v_add_f64 v[2:3], v[0:1], v[4:5]
	v_fma_f64 v[8:9], v[26:27], s[16:17], v[28:29]
	v_fma_f64 v[10:11], v[26:27], s[10:11], v[16:17]
	;; [unrolled: 1-line block ×6, first 2 shown]
	v_add_f64 v[0:1], v[6:7], v[14:15]
	v_fma_f64 v[26:27], v[32:33], s[16:17], v[66:67]
	v_fma_f64 v[22:23], v[32:33], s[10:11], v[22:23]
	;; [unrolled: 1-line block ×8, first 2 shown]
	s_clause 0x1
	scratch_load_b32 v20, off, off offset:8
	scratch_load_b32 v21, off, off offset:88
	v_fma_f64 v[8:9], v[40:41], s[18:19], v[26:27]
	v_fma_f64 v[4:5], v[40:41], s[18:19], v[22:23]
	s_waitcnt vmcnt(0)
	v_lshl_add_u32 v20, v21, 4, v20
	ds_store_b128 v20, v[0:3] offset:10400
	ds_store_b128 v20, v[16:19] offset:10608
	ds_store_b128 v20, v[8:11] offset:10816
	ds_store_b128 v20, v[4:7] offset:11024
	ds_store_b128 v20, v[12:15] offset:11232
.LBB0_21:
	s_or_b32 exec_lo, exec_lo, s1
	s_waitcnt lgkmcnt(0)
	s_barrier
	buffer_gl0_inv
	ds_load_b128 v[0:3], v255 offset:1040
	ds_load_b128 v[8:11], v255 offset:10400
	;; [unrolled: 1-line block ×10, first 2 shown]
	s_mov_b32 s0, 0xf8bb580b
	s_mov_b32 s2, 0x8764f0ba
	;; [unrolled: 1-line block ×14, first 2 shown]
	s_waitcnt lgkmcnt(8)
	v_mul_f64 v[44:45], v[50:51], v[8:9]
	s_waitcnt lgkmcnt(7)
	v_mul_f64 v[46:47], v[62:63], v[12:13]
	v_mul_f64 v[4:5], v[58:59], v[2:3]
	;; [unrolled: 1-line block ×3, first 2 shown]
	s_waitcnt lgkmcnt(6)
	v_mul_f64 v[58:59], v[54:55], v[16:17]
	v_mul_f64 v[62:63], v[62:63], v[14:15]
	s_waitcnt lgkmcnt(5)
	v_mul_f64 v[66:67], v[78:79], v[20:21]
	s_waitcnt lgkmcnt(4)
	v_mul_f64 v[69:70], v[86:87], v[24:25]
	v_mul_f64 v[50:51], v[50:51], v[10:11]
	v_mul_f64 v[78:79], v[78:79], v[22:23]
	v_mul_f64 v[54:55], v[54:55], v[18:19]
	v_mul_f64 v[86:87], v[86:87], v[26:27]
	s_waitcnt lgkmcnt(1)
	v_mul_f64 v[98:99], v[82:83], v[38:39]
	v_mul_f64 v[96:97], v[74:75], v[30:31]
	;; [unrolled: 1-line block ×6, first 2 shown]
	s_mov_b32 s27, 0xbfe82f19
	s_mov_b32 s29, 0xbfe4f49e
	;; [unrolled: 1-line block ×16, first 2 shown]
	v_fma_f64 v[64:65], v[56:57], v[0:1], v[4:5]
	v_fma_f64 v[56:57], v[56:57], v[2:3], -v[6:7]
	ds_load_b128 v[0:3], v255
	s_waitcnt lgkmcnt(1)
	v_mul_f64 v[102:103], v[90:91], v[42:43]
	v_mul_f64 v[90:91], v[90:91], v[40:41]
	v_fma_f64 v[4:5], v[48:49], v[10:11], -v[44:45]
	v_fma_f64 v[44:45], v[60:61], v[14:15], -v[46:47]
	v_fma_f64 v[6:7], v[52:53], v[18:19], -v[58:59]
	v_fma_f64 v[18:19], v[60:61], v[12:13], v[62:63]
	v_fma_f64 v[22:23], v[76:77], v[22:23], -v[66:67]
	v_fma_f64 v[12:13], v[84:85], v[26:27], -v[69:70]
	v_fma_f64 v[8:9], v[48:49], v[8:9], v[50:51]
	v_fma_f64 v[20:21], v[76:77], v[20:21], v[78:79]
	;; [unrolled: 1-line block ×6, first 2 shown]
	v_fma_f64 v[24:25], v[72:73], v[30:31], -v[74:75]
	v_fma_f64 v[28:29], v[80:81], v[38:39], -v[82:83]
	v_fma_f64 v[30:31], v[92:93], v[32:33], v[100:101]
	v_fma_f64 v[32:33], v[92:93], v[34:35], -v[94:95]
	s_waitcnt lgkmcnt(0)
	v_add_f64 v[46:47], v[0:1], v[64:65]
	v_add_f64 v[58:59], v[2:3], v[56:57]
	v_fma_f64 v[34:35], v[88:89], v[40:41], v[102:103]
	v_fma_f64 v[36:37], v[88:89], v[42:43], -v[90:91]
	v_add_f64 v[38:39], v[56:57], -v[4:5]
	v_add_f64 v[40:41], v[56:57], v[4:5]
	v_add_f64 v[42:43], v[44:45], -v[6:7]
	v_add_f64 v[48:49], v[44:45], v[6:7]
	;; [unrolled: 2-line block ×3, first 2 shown]
	v_add_f64 v[54:55], v[64:65], v[8:9]
	v_add_f64 v[60:61], v[20:21], v[14:15]
	v_add_f64 v[62:63], v[20:21], -v[14:15]
	v_add_f64 v[56:57], v[64:65], -v[8:9]
	v_add_f64 v[64:65], v[16:17], v[26:27]
	v_add_f64 v[71:72], v[16:17], -v[26:27]
	v_add_f64 v[66:67], v[24:25], v[28:29]
	;; [unrolled: 2-line block ×3, first 2 shown]
	v_add_f64 v[44:45], v[58:59], v[44:45]
	v_add_f64 v[58:59], v[18:19], v[10:11]
	v_add_f64 v[18:19], v[18:19], -v[10:11]
	v_add_f64 v[75:76], v[32:33], v[36:37]
	v_mul_f64 v[81:82], v[38:39], s[0:1]
	v_mul_f64 v[83:84], v[40:41], s[2:3]
	;; [unrolled: 1-line block ×24, first 2 shown]
	v_add_f64 v[73:74], v[30:31], v[34:35]
	v_add_f64 v[77:78], v[30:31], -v[34:35]
	v_add_f64 v[79:80], v[32:33], -v[36:37]
	v_mul_f64 v[50:51], v[50:51], s[26:27]
	v_mul_f64 v[52:53], v[52:53], s[28:29]
	;; [unrolled: 1-line block ×6, first 2 shown]
	v_add_f64 v[20:21], v[46:47], v[20:21]
	v_add_f64 v[22:23], v[44:45], v[22:23]
	v_mul_f64 v[44:45], v[48:49], s[28:29]
	v_mul_f64 v[46:47], v[42:43], s[38:39]
	;; [unrolled: 1-line block ×6, first 2 shown]
	v_fma_f64 v[157:158], v[54:55], s[16:17], v[85:86]
	v_fma_f64 v[161:162], v[56:57], s[18:19], v[87:88]
	v_fma_f64 v[85:86], v[54:55], s[16:17], -v[85:86]
	v_fma_f64 v[163:164], v[54:55], s[22:23], v[89:90]
	v_fma_f64 v[165:166], v[56:57], s[24:25], v[91:92]
	v_fma_f64 v[89:90], v[54:55], s[22:23], -v[89:90]
	v_fma_f64 v[167:168], v[54:55], s[28:29], v[93:94]
	v_fma_f64 v[169:170], v[56:57], s[30:31], v[95:96]
	v_mul_f64 v[42:43], v[42:43], s[8:9]
	v_mul_f64 v[48:49], v[48:49], s[2:3]
	v_fma_f64 v[93:94], v[54:55], s[28:29], -v[93:94]
	v_fma_f64 v[171:172], v[54:55], s[36:37], v[38:39]
	v_fma_f64 v[173:174], v[56:57], s[38:39], v[40:41]
	v_fma_f64 v[38:39], v[54:55], s[36:37], -v[38:39]
	v_fma_f64 v[40:41], v[56:57], s[34:35], v[40:41]
	v_fma_f64 v[95:96], v[56:57], s[26:27], v[95:96]
	;; [unrolled: 1-line block ×5, first 2 shown]
	v_fma_f64 v[101:102], v[58:59], s[28:29], -v[101:102]
	v_fma_f64 v[181:182], v[18:19], s[34:35], v[103:104]
	v_fma_f64 v[183:184], v[58:59], s[22:23], v[105:106]
	;; [unrolled: 1-line block ×3, first 2 shown]
	v_fma_f64 v[105:106], v[58:59], s[22:23], -v[105:106]
	v_fma_f64 v[103:104], v[18:19], s[38:39], v[103:104]
	v_fma_f64 v[187:188], v[60:61], s[36:37], v[113:114]
	;; [unrolled: 1-line block ×3, first 2 shown]
	v_mul_f64 v[133:134], v[69:70], s[0:1]
	v_mul_f64 v[135:136], v[66:67], s[2:3]
	v_fma_f64 v[191:192], v[60:61], s[16:17], v[117:118]
	v_add_f64 v[16:17], v[20:21], v[16:17]
	v_add_f64 v[20:21], v[22:23], v[24:25]
	v_mul_f64 v[22:23], v[75:76], s[22:23]
	v_fma_f64 v[24:25], v[54:55], s[2:3], v[81:82]
	v_fma_f64 v[75:76], v[56:57], s[8:9], v[83:84]
	v_fma_f64 v[81:82], v[54:55], s[2:3], -v[81:82]
	v_fma_f64 v[83:84], v[56:57], s[0:1], v[83:84]
	v_fma_f64 v[54:55], v[58:59], s[16:17], v[97:98]
	;; [unrolled: 1-line block ×3, first 2 shown]
	v_fma_f64 v[97:98], v[58:59], s[16:17], -v[97:98]
	v_fma_f64 v[99:100], v[18:19], s[10:11], v[99:100]
	v_fma_f64 v[177:178], v[18:19], s[30:31], v[44:45]
	v_add_f64 v[157:158], v[0:1], v[157:158]
	v_add_f64 v[161:162], v[2:3], v[161:162]
	v_fma_f64 v[179:180], v[58:59], s[36:37], v[46:47]
	v_add_f64 v[85:86], v[0:1], v[85:86]
	v_add_f64 v[163:164], v[0:1], v[163:164]
	;; [unrolled: 1-line block ×3, first 2 shown]
	v_fma_f64 v[46:47], v[58:59], s[36:37], -v[46:47]
	v_add_f64 v[89:90], v[0:1], v[89:90]
	v_add_f64 v[167:168], v[0:1], v[167:168]
	;; [unrolled: 1-line block ×6, first 2 shown]
	v_fma_f64 v[44:45], v[18:19], s[26:27], v[44:45]
	v_add_f64 v[91:92], v[2:3], v[91:92]
	v_add_f64 v[87:88], v[2:3], v[87:88]
	v_fma_f64 v[193:194], v[62:63], s[10:11], v[119:120]
	v_mul_f64 v[137:138], v[69:70], s[34:35]
	v_mul_f64 v[139:140], v[66:67], s[36:37]
	;; [unrolled: 1-line block ×4, first 2 shown]
	v_fma_f64 v[117:118], v[60:61], s[16:17], -v[117:118]
	v_fma_f64 v[119:120], v[62:63], s[18:19], v[119:120]
	v_fma_f64 v[113:114], v[60:61], s[36:37], -v[113:114]
	v_fma_f64 v[115:116], v[62:63], s[38:39], v[115:116]
	v_mul_f64 v[145:146], v[79:80], s[8:9]
	v_add_f64 v[16:17], v[16:17], v[30:31]
	v_add_f64 v[20:21], v[20:21], v[32:33]
	v_fma_f64 v[30:31], v[18:19], s[24:25], v[107:108]
	v_add_f64 v[24:25], v[0:1], v[24:25]
	v_fma_f64 v[32:33], v[58:59], s[2:3], v[42:43]
	v_add_f64 v[81:82], v[0:1], v[81:82]
	v_add_f64 v[83:84], v[2:3], v[83:84]
	v_fma_f64 v[107:108], v[18:19], s[0:1], v[48:49]
	v_fma_f64 v[42:43], v[58:59], s[2:3], -v[42:43]
	v_fma_f64 v[18:19], v[18:19], s[8:9], v[48:49]
	v_add_f64 v[0:1], v[0:1], v[38:39]
	v_add_f64 v[38:39], v[2:3], v[40:41]
	;; [unrolled: 1-line block ×4, first 2 shown]
	v_fma_f64 v[48:49], v[60:61], s[22:23], v[109:110]
	v_fma_f64 v[58:59], v[62:63], s[24:25], v[111:112]
	v_fma_f64 v[109:110], v[60:61], s[22:23], -v[109:110]
	v_fma_f64 v[111:112], v[62:63], s[20:21], v[111:112]
	v_add_f64 v[85:86], v[101:102], v[85:86]
	v_add_f64 v[101:102], v[181:182], v[165:166]
	;; [unrolled: 1-line block ×4, first 2 shown]
	v_fma_f64 v[75:76], v[60:61], s[2:3], -v[121:122]
	v_fma_f64 v[95:96], v[62:63], s[0:1], v[123:124]
	v_add_f64 v[93:94], v[105:106], v[93:94]
	v_fma_f64 v[195:196], v[64:65], s[22:23], v[129:130]
	v_fma_f64 v[197:198], v[71:72], s[20:21], v[131:132]
	v_mul_f64 v[141:142], v[79:80], s[34:35]
	v_mul_f64 v[149:150], v[79:80], s[26:27]
	;; [unrolled: 1-line block ×4, first 2 shown]
	v_fma_f64 v[129:130], v[64:65], s[22:23], -v[129:130]
	v_fma_f64 v[131:132], v[71:72], s[24:25], v[131:132]
	v_add_f64 v[16:17], v[16:17], v[34:35]
	v_add_f64 v[20:21], v[20:21], v[36:37]
	v_fma_f64 v[34:35], v[60:61], s[2:3], v[121:122]
	v_add_f64 v[24:25], v[54:55], v[24:25]
	v_fma_f64 v[36:37], v[62:63], s[8:9], v[123:124]
	v_add_f64 v[54:55], v[97:98], v[81:82]
	v_add_f64 v[81:82], v[99:100], v[83:84]
	;; [unrolled: 1-line block ×6, first 2 shown]
	v_fma_f64 v[121:122], v[60:61], s[28:29], v[50:51]
	v_fma_f64 v[123:124], v[62:63], s[30:31], v[52:53]
	v_add_f64 v[32:33], v[32:33], v[171:172]
	v_add_f64 v[105:106], v[107:108], v[173:174]
	v_fma_f64 v[50:51], v[60:61], s[28:29], -v[50:51]
	v_fma_f64 v[52:53], v[62:63], s[26:27], v[52:53]
	v_add_f64 v[0:1], v[42:43], v[0:1]
	v_add_f64 v[18:19], v[18:19], v[38:39]
	;; [unrolled: 1-line block ×6, first 2 shown]
	v_fma_f64 v[60:61], v[64:65], s[28:29], v[125:126]
	v_fma_f64 v[62:63], v[71:72], s[30:31], v[127:128]
	v_fma_f64 v[125:126], v[64:65], s[28:29], -v[125:126]
	v_fma_f64 v[127:128], v[71:72], s[26:27], v[127:128]
	v_fma_f64 v[56:57], v[64:65], s[36:37], v[137:138]
	;; [unrolled: 1-line block ×3, first 2 shown]
	v_fma_f64 v[42:43], v[64:65], s[2:3], -v[133:134]
	v_fma_f64 v[91:92], v[64:65], s[36:37], -v[137:138]
	v_fma_f64 v[107:108], v[64:65], s[16:17], v[69:70]
	v_add_f64 v[46:47], v[117:118], v[46:47]
	v_add_f64 v[75:76], v[75:76], v[93:94]
	v_fma_f64 v[103:104], v[71:72], s[34:35], v[139:140]
	v_fma_f64 v[44:45], v[71:72], s[0:1], v[135:136]
	v_add_f64 v[85:86], v[113:114], v[85:86]
	v_fma_f64 v[137:138], v[77:78], s[34:35], v[143:144]
	v_add_f64 v[16:17], v[16:17], v[26:27]
	v_add_f64 v[20:21], v[20:21], v[28:29]
	v_fma_f64 v[26:27], v[64:65], s[2:3], v[133:134]
	v_add_f64 v[24:25], v[48:49], v[24:25]
	v_fma_f64 v[28:29], v[71:72], s[8:9], v[135:136]
	v_add_f64 v[48:49], v[109:110], v[54:55]
	v_add_f64 v[54:55], v[111:112], v[81:82]
	v_add_f64 v[81:82], v[187:188], v[83:84]
	v_add_f64 v[83:84], v[189:190], v[97:98]
	v_add_f64 v[97:98], v[191:192], v[99:100]
	v_add_f64 v[99:100], v[193:194], v[101:102]
	v_add_f64 v[34:35], v[34:35], v[89:90]
	v_add_f64 v[36:37], v[36:37], v[157:158]
	v_fma_f64 v[133:134], v[71:72], s[10:11], v[66:67]
	v_add_f64 v[32:33], v[121:122], v[32:33]
	v_add_f64 v[89:90], v[123:124], v[105:106]
	v_fma_f64 v[64:65], v[64:65], s[16:17], -v[69:70]
	v_fma_f64 v[66:67], v[71:72], s[18:19], v[66:67]
	v_add_f64 v[0:1], v[50:51], v[0:1]
	v_add_f64 v[18:19], v[52:53], v[18:19]
	;; [unrolled: 1-line block ×6, first 2 shown]
	v_fma_f64 v[71:72], v[77:78], s[38:39], v[143:144]
	v_fma_f64 v[52:53], v[77:78], s[8:9], v[147:148]
	;; [unrolled: 1-line block ×8, first 2 shown]
	v_fma_f64 v[135:136], v[73:74], s[36:37], -v[141:142]
	v_fma_f64 v[58:59], v[73:74], s[28:29], v[149:150]
	v_fma_f64 v[105:106], v[73:74], s[16:17], v[153:154]
	;; [unrolled: 1-line block ×3, first 2 shown]
	v_add_f64 v[42:43], v[42:43], v[46:47]
	v_add_f64 v[46:47], v[91:92], v[75:76]
	;; [unrolled: 1-line block ×4, first 2 shown]
	v_fma_f64 v[16:17], v[73:74], s[2:3], v[145:146]
	v_fma_f64 v[20:21], v[77:78], s[0:1], v[147:148]
	v_fma_f64 v[77:78], v[77:78], s[20:21], v[22:23]
	v_add_f64 v[22:23], v[60:61], v[24:25]
	v_add_f64 v[24:25], v[125:126], v[48:49]
	;; [unrolled: 1-line block ×11, first 2 shown]
	v_fma_f64 v[50:51], v[73:74], s[2:3], -v[145:146]
	v_fma_f64 v[95:96], v[73:74], s[28:29], -v[149:150]
	;; [unrolled: 1-line block ×4, first 2 shown]
	v_add_f64 v[64:65], v[64:65], v[0:1]
	v_add_f64 v[66:67], v[66:67], v[18:19]
	;; [unrolled: 1-line block ×7, first 2 shown]
	s_and_b32 s0, exec_lo, vcc_lo
	v_add_f64 v[87:88], v[14:15], v[10:11]
	v_add_f64 v[89:90], v[12:13], v[6:7]
	;; [unrolled: 1-line block ×24, first 2 shown]
	ds_store_b128 v68, v[14:17] offset:2080
	ds_store_b128 v68, v[22:25] offset:3120
	;; [unrolled: 1-line block ×9, first 2 shown]
	ds_store_b128 v68, v[6:9]
	ds_store_b128 v68, v[0:3] offset:1040
	s_waitcnt lgkmcnt(0)
	s_barrier
	buffer_gl0_inv
	scratch_load_b64 v[59:60], off, off offset:44 ; 8-byte Folded Reload
	s_mov_b32 exec_lo, s0
	s_cbranch_execz .LBB0_23
; %bb.22:
	scratch_load_b32 v16, off, off offset:4 ; 4-byte Folded Reload
	s_waitcnt vmcnt(1)
	v_mad_u64_u32 v[81:82], null, s6, v59, 0
	s_mul_hi_u32 s1, s4, 0x370
	s_mul_i32 s2, s4, 0x370
	s_waitcnt vmcnt(0)
	s_clause 0x2
	global_load_b128 v[0:3], v16, s[14:15]
	global_load_b128 v[4:7], v16, s[14:15] offset:880
	global_load_b128 v[8:11], v16, s[14:15] offset:1760
	v_add_co_u32 v32, s0, s14, v16
	s_delay_alu instid0(VALU_DEP_1) | instskip(SKIP_1) | instid1(VALU_DEP_2)
	v_add_co_ci_u32_e64 v33, null, s15, 0, s0
	s_mul_i32 s0, s5, 0x370
	v_add_co_u32 v36, vcc_lo, 0x1000, v32
	s_delay_alu instid0(VALU_DEP_2)
	v_add_co_ci_u32_e32 v37, vcc_lo, 0, v33, vcc_lo
	v_add_co_u32 v97, vcc_lo, 0x2000, v32
	v_add_co_ci_u32_e32 v98, vcc_lo, 0, v33, vcc_lo
	s_clause 0x8
	global_load_b128 v[12:15], v16, s[14:15] offset:2640
	global_load_b128 v[16:19], v16, s[14:15] offset:3520
	global_load_b128 v[20:23], v[36:37], off offset:304
	global_load_b128 v[24:27], v[36:37], off offset:1184
	;; [unrolled: 1-line block ×7, first 2 shown]
	scratch_load_b32 v58, off, off          ; 4-byte Folded Reload
	ds_load_b128 v[48:51], v68
	ds_load_b128 v[52:55], v68 offset:880
	s_add_i32 s3, s1, s0
	s_mov_b32 s0, 0xd118b474
	s_mov_b32 s1, 0x3f56ea28
	s_waitcnt vmcnt(11) lgkmcnt(0)
	v_mul_f64 v[103:104], v[54:55], v[6:7]
	v_mul_f64 v[6:7], v[52:53], v[6:7]
	s_waitcnt vmcnt(0)
	v_mad_u64_u32 v[99:100], null, s4, v58, 0
	s_delay_alu instid0(VALU_DEP_1) | instskip(NEXT) | instid1(VALU_DEP_1)
	v_dual_mov_b32 v56, v82 :: v_dual_mov_b32 v57, v100
	v_mad_u64_u32 v[64:65], null, s7, v59, v[56:57]
	v_mad_u64_u32 v[83:84], null, s5, v58, v[57:58]
	ds_load_b128 v[56:59], v68 offset:1760
	ds_load_b128 v[60:63], v68 offset:2640
	v_mov_b32_e32 v82, v64
	ds_load_b128 v[64:67], v68 offset:3520
	ds_load_b128 v[69:72], v68 offset:4400
	ds_load_b128 v[73:76], v68 offset:5280
	ds_load_b128 v[77:80], v68 offset:6160
	v_mov_b32_e32 v100, v83
	v_fma_f64 v[6:7], v[4:5], v[54:55], -v[6:7]
	v_lshlrev_b64 v[101:102], 4, v[81:82]
	ds_load_b128 v[81:84], v68 offset:7040
	ds_load_b128 v[85:88], v68 offset:7920
	;; [unrolled: 1-line block ×4, first 2 shown]
	v_lshlrev_b64 v[99:100], 4, v[99:100]
	v_add_co_u32 v125, vcc_lo, s12, v101
	v_add_co_ci_u32_e32 v126, vcc_lo, s13, v102, vcc_lo
	v_mul_f64 v[101:102], v[50:51], v[2:3]
	v_mul_f64 v[2:3], v[48:49], v[2:3]
	s_waitcnt lgkmcnt(9)
	v_mul_f64 v[105:106], v[58:59], v[10:11]
	v_mul_f64 v[10:11], v[56:57], v[10:11]
	s_waitcnt lgkmcnt(8)
	;; [unrolled: 3-line block ×10, first 2 shown]
	v_mul_f64 v[123:124], v[95:96], v[46:47]
	v_mul_f64 v[46:47], v[93:94], v[46:47]
	v_add_co_u32 v99, vcc_lo, v125, v99
	v_add_co_ci_u32_e32 v100, vcc_lo, v126, v100, vcc_lo
	v_mul_f64 v[6:7], v[6:7], s[0:1]
	s_delay_alu instid0(VALU_DEP_3) | instskip(NEXT) | instid1(VALU_DEP_3)
	v_add_co_u32 v125, vcc_lo, v99, s2
	v_add_co_ci_u32_e32 v126, vcc_lo, s3, v100, vcc_lo
	s_delay_alu instid0(VALU_DEP_2) | instskip(NEXT) | instid1(VALU_DEP_2)
	v_add_co_u32 v127, vcc_lo, v125, s2
	v_add_co_ci_u32_e32 v128, vcc_lo, s3, v126, vcc_lo
	v_fma_f64 v[48:49], v[48:49], v[0:1], v[101:102]
	v_fma_f64 v[2:3], v[0:1], v[50:51], -v[2:3]
	v_fma_f64 v[50:51], v[52:53], v[4:5], v[103:104]
	v_fma_f64 v[52:53], v[56:57], v[8:9], v[105:106]
	v_fma_f64 v[10:11], v[8:9], v[58:59], -v[10:11]
	v_fma_f64 v[54:55], v[60:61], v[12:13], v[107:108]
	v_fma_f64 v[14:15], v[12:13], v[62:63], -v[14:15]
	;; [unrolled: 2-line block ×10, first 2 shown]
	v_add_co_u32 v73, vcc_lo, v127, s2
	v_add_co_ci_u32_e32 v74, vcc_lo, s3, v128, vcc_lo
	s_delay_alu instid0(VALU_DEP_2) | instskip(NEXT) | instid1(VALU_DEP_2)
	v_add_co_u32 v75, vcc_lo, v73, s2
	v_add_co_ci_u32_e32 v76, vcc_lo, s3, v74, vcc_lo
	s_delay_alu instid0(VALU_DEP_2) | instskip(NEXT) | instid1(VALU_DEP_2)
	v_add_co_u32 v77, vcc_lo, v75, s2
	v_add_co_ci_u32_e32 v78, vcc_lo, s3, v76, vcc_lo
	v_mul_f64 v[0:1], v[48:49], s[0:1]
	v_mul_f64 v[2:3], v[2:3], s[0:1]
	;; [unrolled: 1-line block ×23, first 2 shown]
	v_add_co_u32 v48, vcc_lo, v77, s2
	v_add_co_ci_u32_e32 v49, vcc_lo, s3, v78, vcc_lo
	s_delay_alu instid0(VALU_DEP_2) | instskip(NEXT) | instid1(VALU_DEP_2)
	v_add_co_u32 v50, vcc_lo, v48, s2
	v_add_co_ci_u32_e32 v51, vcc_lo, s3, v49, vcc_lo
	s_delay_alu instid0(VALU_DEP_2) | instskip(NEXT) | instid1(VALU_DEP_2)
	;; [unrolled: 3-line block ×5, first 2 shown]
	v_add_co_u32 v58, vcc_lo, v56, s2
	v_add_co_ci_u32_e32 v59, vcc_lo, s3, v57, vcc_lo
	s_clause 0x4
	global_store_b128 v[99:100], v[0:3], off
	global_store_b128 v[125:126], v[4:7], off
	;; [unrolled: 1-line block ×12, first 2 shown]
	global_load_b128 v[0:3], v[97:98], off offset:2368
	ds_load_b128 v[4:7], v68 offset:10560
	s_waitcnt vmcnt(0) lgkmcnt(0)
	v_mul_f64 v[8:9], v[6:7], v[2:3]
	v_mul_f64 v[2:3], v[4:5], v[2:3]
	s_delay_alu instid0(VALU_DEP_2) | instskip(NEXT) | instid1(VALU_DEP_2)
	v_fma_f64 v[4:5], v[4:5], v[0:1], v[8:9]
	v_fma_f64 v[2:3], v[0:1], v[6:7], -v[2:3]
	s_delay_alu instid0(VALU_DEP_2) | instskip(NEXT) | instid1(VALU_DEP_2)
	v_mul_f64 v[0:1], v[4:5], s[0:1]
	v_mul_f64 v[2:3], v[2:3], s[0:1]
	v_add_co_u32 v4, vcc_lo, v58, s2
	v_add_co_ci_u32_e32 v5, vcc_lo, s3, v59, vcc_lo
	global_store_b128 v[4:5], v[0:3], off
.LBB0_23:
	s_nop 0
	s_sendmsg sendmsg(MSG_DEALLOC_VGPRS)
	s_endpgm
	.section	.rodata,"a",@progbits
	.p2align	6, 0x0
	.amdhsa_kernel bluestein_single_back_len715_dim1_dp_op_CI_CI
		.amdhsa_group_segment_fixed_size 34320
		.amdhsa_private_segment_fixed_size 176
		.amdhsa_kernarg_size 104
		.amdhsa_user_sgpr_count 15
		.amdhsa_user_sgpr_dispatch_ptr 0
		.amdhsa_user_sgpr_queue_ptr 0
		.amdhsa_user_sgpr_kernarg_segment_ptr 1
		.amdhsa_user_sgpr_dispatch_id 0
		.amdhsa_user_sgpr_private_segment_size 0
		.amdhsa_wavefront_size32 1
		.amdhsa_uses_dynamic_stack 0
		.amdhsa_enable_private_segment 1
		.amdhsa_system_sgpr_workgroup_id_x 1
		.amdhsa_system_sgpr_workgroup_id_y 0
		.amdhsa_system_sgpr_workgroup_id_z 0
		.amdhsa_system_sgpr_workgroup_info 0
		.amdhsa_system_vgpr_workitem_id 0
		.amdhsa_next_free_vgpr 256
		.amdhsa_next_free_sgpr 46
		.amdhsa_reserve_vcc 1
		.amdhsa_float_round_mode_32 0
		.amdhsa_float_round_mode_16_64 0
		.amdhsa_float_denorm_mode_32 3
		.amdhsa_float_denorm_mode_16_64 3
		.amdhsa_dx10_clamp 1
		.amdhsa_ieee_mode 1
		.amdhsa_fp16_overflow 0
		.amdhsa_workgroup_processor_mode 1
		.amdhsa_memory_ordered 1
		.amdhsa_forward_progress 0
		.amdhsa_shared_vgpr_count 0
		.amdhsa_exception_fp_ieee_invalid_op 0
		.amdhsa_exception_fp_denorm_src 0
		.amdhsa_exception_fp_ieee_div_zero 0
		.amdhsa_exception_fp_ieee_overflow 0
		.amdhsa_exception_fp_ieee_underflow 0
		.amdhsa_exception_fp_ieee_inexact 0
		.amdhsa_exception_int_div_zero 0
	.end_amdhsa_kernel
	.text
.Lfunc_end0:
	.size	bluestein_single_back_len715_dim1_dp_op_CI_CI, .Lfunc_end0-bluestein_single_back_len715_dim1_dp_op_CI_CI
                                        ; -- End function
	.section	.AMDGPU.csdata,"",@progbits
; Kernel info:
; codeLenInByte = 24320
; NumSgprs: 48
; NumVgprs: 256
; ScratchSize: 176
; MemoryBound: 0
; FloatMode: 240
; IeeeMode: 1
; LDSByteSize: 34320 bytes/workgroup (compile time only)
; SGPRBlocks: 5
; VGPRBlocks: 31
; NumSGPRsForWavesPerEU: 48
; NumVGPRsForWavesPerEU: 256
; Occupancy: 5
; WaveLimiterHint : 1
; COMPUTE_PGM_RSRC2:SCRATCH_EN: 1
; COMPUTE_PGM_RSRC2:USER_SGPR: 15
; COMPUTE_PGM_RSRC2:TRAP_HANDLER: 0
; COMPUTE_PGM_RSRC2:TGID_X_EN: 1
; COMPUTE_PGM_RSRC2:TGID_Y_EN: 0
; COMPUTE_PGM_RSRC2:TGID_Z_EN: 0
; COMPUTE_PGM_RSRC2:TIDIG_COMP_CNT: 0
	.text
	.p2alignl 7, 3214868480
	.fill 96, 4, 3214868480
	.type	__hip_cuid_1863eedc02a94f73,@object ; @__hip_cuid_1863eedc02a94f73
	.section	.bss,"aw",@nobits
	.globl	__hip_cuid_1863eedc02a94f73
__hip_cuid_1863eedc02a94f73:
	.byte	0                               ; 0x0
	.size	__hip_cuid_1863eedc02a94f73, 1

	.ident	"AMD clang version 19.0.0git (https://github.com/RadeonOpenCompute/llvm-project roc-6.4.0 25133 c7fe45cf4b819c5991fe208aaa96edf142730f1d)"
	.section	".note.GNU-stack","",@progbits
	.addrsig
	.addrsig_sym __hip_cuid_1863eedc02a94f73
	.amdgpu_metadata
---
amdhsa.kernels:
  - .args:
      - .actual_access:  read_only
        .address_space:  global
        .offset:         0
        .size:           8
        .value_kind:     global_buffer
      - .actual_access:  read_only
        .address_space:  global
        .offset:         8
        .size:           8
        .value_kind:     global_buffer
      - .actual_access:  read_only
        .address_space:  global
        .offset:         16
        .size:           8
        .value_kind:     global_buffer
      - .actual_access:  read_only
        .address_space:  global
        .offset:         24
        .size:           8
        .value_kind:     global_buffer
      - .actual_access:  read_only
        .address_space:  global
        .offset:         32
        .size:           8
        .value_kind:     global_buffer
      - .offset:         40
        .size:           8
        .value_kind:     by_value
      - .address_space:  global
        .offset:         48
        .size:           8
        .value_kind:     global_buffer
      - .address_space:  global
        .offset:         56
        .size:           8
        .value_kind:     global_buffer
      - .address_space:  global
        .offset:         64
        .size:           8
        .value_kind:     global_buffer
      - .address_space:  global
        .offset:         72
        .size:           8
        .value_kind:     global_buffer
      - .offset:         80
        .size:           4
        .value_kind:     by_value
      - .address_space:  global
        .offset:         88
        .size:           8
        .value_kind:     global_buffer
      - .address_space:  global
        .offset:         96
        .size:           8
        .value_kind:     global_buffer
    .group_segment_fixed_size: 34320
    .kernarg_segment_align: 8
    .kernarg_segment_size: 104
    .language:       OpenCL C
    .language_version:
      - 2
      - 0
    .max_flat_workgroup_size: 195
    .name:           bluestein_single_back_len715_dim1_dp_op_CI_CI
    .private_segment_fixed_size: 176
    .sgpr_count:     48
    .sgpr_spill_count: 0
    .symbol:         bluestein_single_back_len715_dim1_dp_op_CI_CI.kd
    .uniform_work_group_size: 1
    .uses_dynamic_stack: false
    .vgpr_count:     256
    .vgpr_spill_count: 51
    .wavefront_size: 32
    .workgroup_processor_mode: 1
amdhsa.target:   amdgcn-amd-amdhsa--gfx1100
amdhsa.version:
  - 1
  - 2
...

	.end_amdgpu_metadata
